;; amdgpu-corpus repo=ROCm/rocFFT kind=compiled arch=gfx906 opt=O3
	.text
	.amdgcn_target "amdgcn-amd-amdhsa--gfx906"
	.amdhsa_code_object_version 6
	.protected	bluestein_single_fwd_len2304_dim1_sp_op_CI_CI ; -- Begin function bluestein_single_fwd_len2304_dim1_sp_op_CI_CI
	.globl	bluestein_single_fwd_len2304_dim1_sp_op_CI_CI
	.p2align	8
	.type	bluestein_single_fwd_len2304_dim1_sp_op_CI_CI,@function
bluestein_single_fwd_len2304_dim1_sp_op_CI_CI: ; @bluestein_single_fwd_len2304_dim1_sp_op_CI_CI
; %bb.0:
	s_load_dwordx4 s[16:19], s[4:5], 0x28
	v_mul_u32_u24_e32 v1, 0x156, v0
	v_add_u32_sdwa v62, s6, v1 dst_sel:DWORD dst_unused:UNUSED_PAD src0_sel:DWORD src1_sel:WORD_1
	v_mov_b32_e32 v63, 0
	s_waitcnt lgkmcnt(0)
	v_cmp_gt_u64_e32 vcc, s[16:17], v[62:63]
	s_and_saveexec_b64 s[0:1], vcc
	s_cbranch_execz .LBB0_2
; %bb.1:
	s_load_dwordx4 s[0:3], s[4:5], 0x18
	s_load_dwordx4 s[8:11], s[4:5], 0x0
	s_movk_i32 s16, 0xc0
	v_mul_lo_u16_sdwa v1, v1, s16 dst_sel:DWORD dst_unused:UNUSED_PAD src0_sel:WORD_1 src1_sel:DWORD
	v_sub_u16_e32 v104, v0, v1
	s_waitcnt lgkmcnt(0)
	s_load_dwordx4 s[12:15], s[0:1], 0x0
	v_lshlrev_b32_e32 v99, 3, v104
	v_or_b32_e32 v103, 0x300, v104
	s_add_u32 s6, s8, 0x4800
	s_addc_u32 s7, s9, 0
	s_waitcnt lgkmcnt(0)
	v_mad_u64_u32 v[0:1], s[0:1], s14, v62, 0
	v_mad_u64_u32 v[2:3], s[0:1], s12, v104, 0
	s_mul_i32 s14, s13, 0xc00
	global_load_dwordx2 v[73:74], v99, s[8:9]
	global_load_dwordx2 v[71:72], v99, s[8:9] offset:3072
	v_mad_u64_u32 v[4:5], s[0:1], s15, v62, v[1:2]
	s_mul_hi_u32 s15, s12, 0xc00
	v_or_b32_e32 v102, 0x600, v104
	v_mad_u64_u32 v[5:6], s[0:1], s13, v104, v[3:4]
	v_mov_b32_e32 v1, v4
	v_lshlrev_b64 v[0:1], 3, v[0:1]
	v_mov_b32_e32 v3, v5
	v_mov_b32_e32 v4, s19
	v_add_co_u32_e32 v13, vcc, s18, v0
	v_addc_co_u32_e32 v14, vcc, v4, v1, vcc
	v_lshlrev_b64 v[0:1], 3, v[2:3]
	v_mov_b32_e32 v4, s9
	v_add_co_u32_e32 v0, vcc, v13, v0
	v_addc_co_u32_e32 v1, vcc, v14, v1, vcc
	v_add_co_u32_e32 v23, vcc, s8, v99
	v_addc_co_u32_e32 v24, vcc, 0, v4, vcc
	v_mad_u64_u32 v[4:5], s[0:1], s12, v103, 0
	s_add_i32 s0, s15, s14
	s_mul_i32 s1, s12, 0xc00
	v_mad_u64_u32 v[5:6], s[14:15], s13, v103, v[5:6]
	global_load_dwordx2 v[2:3], v[0:1], off
	v_mov_b32_e32 v7, s0
	v_add_co_u32_e32 v0, vcc, s1, v0
	v_lshlrev_b64 v[4:5], 3, v[4:5]
	v_addc_co_u32_e32 v1, vcc, v1, v7, vcc
	v_add_co_u32_e32 v4, vcc, v13, v4
	v_addc_co_u32_e32 v5, vcc, v14, v5, vcc
	global_load_dwordx2 v[6:7], v[0:1], off
	global_load_dwordx2 v[8:9], v[4:5], off
	v_mad_u64_u32 v[4:5], s[14:15], s12, v102, 0
	v_mov_b32_e32 v100, 0x1800
	v_mad_u64_u32 v[0:1], s[14:15], s12, v100, v[0:1]
	s_movk_i32 s14, 0x2000
	s_mul_i32 s15, s13, 0x1800
	v_add_u32_e32 v1, s15, v1
	v_mov_b32_e32 v101, 0xffffca00
	v_lshlrev_b32_e32 v105, 3, v103
	v_lshlrev_b32_e32 v106, 3, v102
	s_load_dwordx2 s[4:5], s[4:5], 0x38
	s_waitcnt vmcnt(1)
	v_mad_u64_u32 v[10:11], s[18:19], s13, v102, v[5:6]
	v_add_co_u32_e32 v11, vcc, s14, v23
	v_mov_b32_e32 v5, v10
	v_lshlrev_b64 v[4:5], 3, v[4:5]
	v_addc_co_u32_e32 v12, vcc, 0, v24, vcc
	v_add_co_u32_e32 v4, vcc, v13, v4
	v_addc_co_u32_e32 v5, vcc, v14, v5, vcc
	v_mad_u64_u32 v[13:14], s[18:19], s12, v100, v[0:1]
	global_load_dwordx2 v[75:76], v105, s[8:9]
	global_load_dwordx2 v[69:70], v[11:12], off offset:1024
	s_mulk_i32 s13, 0xca00
	v_add_u32_e32 v14, s15, v14
	v_mad_u64_u32 v[17:18], s[18:19], s12, v101, v[13:14]
	s_movk_i32 s15, 0x3000
	v_add_co_u32_e32 v15, vcc, s15, v23
	v_addc_co_u32_e32 v16, vcc, 0, v24, vcc
	s_sub_i32 s12, s13, s12
	global_load_dwordx2 v[4:5], v[4:5], off
	v_add_u32_e32 v18, s12, v18
	global_load_dwordx2 v[67:68], v106, s[8:9]
	global_load_dwordx2 v[63:64], v[15:16], off offset:3072
	global_load_dwordx2 v[19:20], v[0:1], off
	global_load_dwordx2 v[21:22], v[13:14], off
	;; [unrolled: 1-line block ×3, first 2 shown]
	global_load_dwordx2 v[60:61], v99, s[8:9] offset:1536
	v_mov_b32_e32 v1, s0
	v_add_co_u32_e32 v0, vcc, s1, v17
	v_addc_co_u32_e32 v1, vcc, v18, v1, vcc
	s_movk_i32 s9, 0x1000
	v_add_co_u32_e32 v17, vcc, s9, v23
	v_addc_co_u32_e32 v18, vcc, 0, v24, vcc
	global_load_dwordx2 v[13:14], v[0:1], off
	v_mov_b32_e32 v10, s0
	v_add_co_u32_e32 v0, vcc, s1, v0
	v_addc_co_u32_e32 v1, vcc, v1, v10, vcc
	global_load_dwordx2 v[27:28], v[0:1], off
	global_load_dwordx2 v[65:66], v[17:18], off offset:512
	global_load_dwordx2 v[58:59], v[17:18], off offset:3584
	v_add_co_u32_e32 v0, vcc, s1, v0
	v_addc_co_u32_e32 v1, vcc, v1, v10, vcc
	global_load_dwordx2 v[17:18], v[0:1], off
	global_load_dwordx2 v[56:57], v[11:12], off offset:2560
	v_add_co_u32_e32 v0, vcc, s1, v0
	v_addc_co_u32_e32 v1, vcc, v1, v10, vcc
	global_load_dwordx2 v[10:11], v[0:1], off
	global_load_dwordx2 v[54:55], v[15:16], off offset:1536
	v_mov_b32_e32 v12, s0
	v_add_co_u32_e32 v0, vcc, s1, v0
	v_addc_co_u32_e32 v1, vcc, v1, v12, vcc
	s_movk_i32 s8, 0x4000
	v_add_co_u32_e32 v15, vcc, s8, v23
	v_addc_co_u32_e32 v16, vcc, 0, v24, vcc
	global_load_dwordx2 v[0:1], v[0:1], off
	s_load_dwordx4 s[0:3], s[2:3], 0x0
	global_load_dwordx2 v[52:53], v[15:16], off offset:512
	v_mul_f32_e32 v15, v3, v74
	v_fmac_f32_e32 v15, v2, v73
	v_mul_f32_e32 v2, v2, v74
	v_fma_f32 v16, v3, v73, -v2
	v_mul_f32_e32 v2, v7, v72
	v_mul_f32_e32 v3, v6, v72
	v_fmac_f32_e32 v2, v6, v71
	v_fma_f32 v3, v7, v71, -v3
	ds_write_b64 v99, v[2:3] offset:3072
	v_add_co_u32_e32 v24, vcc, s16, v104
	s_movk_i32 s12, 0xab
	s_waitcnt vmcnt(18)
	v_mul_f32_e32 v2, v9, v76
	v_mul_f32_e32 v3, v8, v76
	v_fmac_f32_e32 v2, v8, v75
	v_fma_f32 v3, v9, v75, -v3
	ds_write_b64 v99, v[2:3] offset:6144
	s_waitcnt vmcnt(13)
	v_mul_f32_e32 v2, v20, v70
	v_mul_f32_e32 v3, v19, v70
	v_fmac_f32_e32 v2, v19, v69
	v_fma_f32 v3, v20, v69, -v3
	ds_write_b64 v99, v[2:3] offset:9216
	v_mul_f32_e32 v2, v5, v68
	v_mul_f32_e32 v3, v4, v68
	v_fmac_f32_e32 v2, v4, v67
	v_fma_f32 v3, v5, v67, -v3
	ds_write_b64 v99, v[2:3] offset:12288
	s_waitcnt vmcnt(12)
	v_mul_f32_e32 v2, v22, v64
	v_mul_f32_e32 v3, v21, v64
	v_fmac_f32_e32 v2, v21, v63
	v_fma_f32 v3, v22, v63, -v3
	ds_write_b64 v99, v[2:3] offset:15360
	s_waitcnt vmcnt(10)
	v_mul_f32_e32 v2, v26, v61
	v_mul_f32_e32 v3, v25, v61
	v_fmac_f32_e32 v2, v25, v60
	v_fma_f32 v3, v26, v60, -v3
	ds_write2st64_b64 v99, v[15:16], v[2:3] offset1:3
	s_waitcnt vmcnt(7)
	v_mul_f32_e32 v2, v14, v66
	v_mul_f32_e32 v3, v13, v66
	v_fmac_f32_e32 v2, v13, v65
	v_fma_f32 v3, v14, v65, -v3
	ds_write_b64 v99, v[2:3] offset:4608
	s_waitcnt vmcnt(6)
	v_mul_f32_e32 v2, v28, v59
	v_mul_f32_e32 v3, v27, v59
	v_fmac_f32_e32 v2, v27, v58
	v_fma_f32 v3, v28, v58, -v3
	ds_write_b64 v99, v[2:3] offset:7680
	s_waitcnt vmcnt(4)
	v_mul_f32_e32 v2, v18, v57
	v_mul_f32_e32 v3, v17, v57
	v_fmac_f32_e32 v2, v17, v56
	v_fma_f32 v3, v18, v56, -v3
	ds_write_b64 v99, v[2:3] offset:10752
	s_waitcnt vmcnt(2)
	v_mul_f32_e32 v2, v11, v55
	v_mul_f32_e32 v3, v10, v55
	v_fmac_f32_e32 v2, v10, v54
	v_fma_f32 v3, v11, v54, -v3
	ds_write_b64 v99, v[2:3] offset:13824
	s_waitcnt vmcnt(0)
	v_mul_f32_e32 v2, v1, v53
	v_fmac_f32_e32 v2, v0, v52
	v_mul_f32_e32 v0, v0, v53
	v_fma_f32 v3, v1, v52, -v0
	ds_write_b64 v99, v[2:3] offset:16896
	s_waitcnt lgkmcnt(0)
	s_barrier
	ds_read2st64_b64 v[0:3], v99 offset1:3
	ds_read2st64_b64 v[4:7], v99 offset0:12 offset1:15
	ds_read2st64_b64 v[8:11], v99 offset0:24 offset1:27
	;; [unrolled: 1-line block ×5, first 2 shown]
	s_waitcnt lgkmcnt(4)
	v_add_f32_e32 v25, v0, v4
	s_waitcnt lgkmcnt(3)
	v_add_f32_e32 v31, v25, v8
	v_add_f32_e32 v25, v4, v8
	v_fma_f32 v0, -0.5, v25, v0
	v_sub_f32_e32 v25, v5, v9
	v_mov_b32_e32 v32, v0
	v_fmac_f32_e32 v32, 0x3f5db3d7, v25
	v_fmac_f32_e32 v0, 0xbf5db3d7, v25
	v_add_f32_e32 v25, v1, v5
	v_add_f32_e32 v5, v5, v9
	v_fma_f32 v1, -0.5, v5, v1
	v_sub_f32_e32 v4, v4, v8
	s_waitcnt lgkmcnt(0)
	v_add_f32_e32 v8, v16, v20
	v_mov_b32_e32 v5, v1
	v_fma_f32 v8, -0.5, v8, v12
	v_add_f32_e32 v34, v25, v9
	v_fmac_f32_e32 v5, 0xbf5db3d7, v4
	v_fmac_f32_e32 v1, 0x3f5db3d7, v4
	v_add_f32_e32 v4, v12, v16
	v_sub_f32_e32 v9, v17, v21
	v_mov_b32_e32 v12, v8
	v_fmac_f32_e32 v12, 0x3f5db3d7, v9
	v_fmac_f32_e32 v8, 0xbf5db3d7, v9
	v_add_f32_e32 v9, v13, v17
	v_add_f32_e32 v17, v17, v21
	v_fma_f32 v13, -0.5, v17, v13
	v_sub_f32_e32 v16, v16, v20
	v_add_f32_e32 v4, v4, v20
	v_mov_b32_e32 v17, v13
	v_fmac_f32_e32 v13, 0x3f5db3d7, v16
	v_mul_f32_e32 v20, -0.5, v8
	v_fmac_f32_e32 v17, 0xbf5db3d7, v16
	v_fmac_f32_e32 v20, 0x3f5db3d7, v13
	v_mul_f32_e32 v13, -0.5, v13
	v_mul_f32_e32 v16, 0x3f5db3d7, v17
	v_fmac_f32_e32 v13, 0xbf5db3d7, v8
	v_fmac_f32_e32 v16, 0.5, v12
	v_mul_f32_e32 v12, 0xbf5db3d7, v12
	v_add_f32_e32 v30, v1, v13
	v_sub_f32_e32 v36, v1, v13
	v_add_f32_e32 v1, v6, v10
	v_add_f32_e32 v9, v9, v21
	v_fmac_f32_e32 v12, 0.5, v17
	v_fma_f32 v1, -0.5, v1, v2
	v_add_f32_e32 v25, v31, v4
	v_add_f32_e32 v27, v32, v16
	;; [unrolled: 1-line block ×5, first 2 shown]
	v_sub_f32_e32 v31, v31, v4
	v_sub_f32_e32 v33, v32, v16
	v_sub_f32_e32 v35, v0, v20
	v_sub_f32_e32 v32, v34, v9
	v_sub_f32_e32 v34, v5, v12
	v_add_f32_e32 v0, v2, v6
	v_sub_f32_e32 v2, v7, v11
	v_mov_b32_e32 v12, v1
	v_add_f32_e32 v4, v18, v22
	v_fmac_f32_e32 v12, 0x3f5db3d7, v2
	v_fmac_f32_e32 v1, 0xbf5db3d7, v2
	v_add_f32_e32 v2, v3, v7
	v_fma_f32 v9, -0.5, v4, v14
	v_add_f32_e32 v13, v2, v11
	v_add_f32_e32 v2, v7, v11
	v_sub_f32_e32 v4, v19, v23
	v_mov_b32_e32 v7, v9
	v_fmac_f32_e32 v7, 0x3f5db3d7, v4
	v_fmac_f32_e32 v9, 0xbf5db3d7, v4
	v_add_f32_e32 v4, v15, v19
	v_add_f32_e32 v11, v4, v23
	;; [unrolled: 1-line block ×3, first 2 shown]
	v_fmac_f32_e32 v15, -0.5, v4
	v_add_f32_e32 v0, v0, v10
	v_fmac_f32_e32 v3, -0.5, v2
	v_sub_f32_e32 v2, v6, v10
	v_sub_f32_e32 v4, v18, v22
	v_mov_b32_e32 v10, v15
	v_mov_b32_e32 v16, v3
	v_fmac_f32_e32 v10, 0xbf5db3d7, v4
	v_fmac_f32_e32 v16, 0xbf5db3d7, v2
	;; [unrolled: 1-line block ×3, first 2 shown]
	v_add_f32_e32 v2, v14, v18
	v_mul_f32_e32 v14, 0x3f5db3d7, v10
	v_add_f32_e32 v2, v2, v22
	v_fmac_f32_e32 v14, 0.5, v7
	v_mul_f32_e32 v18, 0xbf5db3d7, v7
	v_fmac_f32_e32 v15, 0x3f5db3d7, v4
	v_add_f32_e32 v4, v0, v2
	v_add_f32_e32 v6, v12, v14
	v_mul_f32_e32 v17, -0.5, v9
	v_fmac_f32_e32 v18, 0.5, v10
	v_sub_f32_e32 v10, v0, v2
	v_sub_f32_e32 v0, v12, v14
	v_mul_lo_u16_e32 v12, 6, v104
	v_fmac_f32_e32 v17, 0x3f5db3d7, v15
	v_mul_f32_e32 v15, -0.5, v15
	v_lshlrev_b32_e32 v109, 3, v12
	v_mul_u32_u24_e32 v12, 6, v24
	v_add_f32_e32 v5, v13, v11
	v_add_f32_e32 v7, v16, v18
	v_fmac_f32_e32 v15, 0xbf5db3d7, v9
	v_lshlrev_b32_e32 v107, 3, v12
	v_add_f32_e32 v8, v1, v17
	v_add_f32_e32 v9, v3, v15
	v_sub_f32_e32 v2, v1, v17
	v_sub_f32_e32 v11, v13, v11
	;; [unrolled: 1-line block ×4, first 2 shown]
	s_barrier
	ds_write_b128 v109, v[25:28]
	ds_write_b128 v109, v[29:32] offset:16
	ds_write_b128 v109, v[33:36] offset:32
	ds_write_b128 v107, v[4:7]
	ds_write_b128 v107, v[8:11] offset:16
	ds_write_b128 v107, v[0:3] offset:32
	v_mul_lo_u16_sdwa v0, v104, s12 dst_sel:DWORD dst_unused:UNUSED_PAD src0_sel:BYTE_0 src1_sel:DWORD
	v_lshrrev_b16_e32 v29, 10, v0
	v_mul_lo_u16_e32 v0, 6, v29
	v_sub_u16_e32 v0, v104, v0
	v_and_b32_e32 v30, 0xff, v0
	v_mad_u64_u32 v[4:5], s[12:13], v30, 40, s[10:11]
	s_mov_b32 s12, 0xaaab
	v_mul_u32_u24_sdwa v0, v24, s12 dst_sel:DWORD dst_unused:UNUSED_PAD src0_sel:WORD_0 src1_sel:DWORD
	s_waitcnt lgkmcnt(0)
	s_barrier
	global_load_dwordx4 v[12:15], v[4:5], off
	v_lshrrev_b32_e32 v33, 18, v0
	v_mul_lo_u16_e32 v0, 6, v33
	v_sub_u16_e32 v34, v24, v0
	v_mul_lo_u16_e32 v0, 40, v34
	v_mov_b32_e32 v36, s11
	v_add_co_u32_e32 v6, vcc, s10, v0
	v_addc_co_u32_e32 v7, vcc, 0, v36, vcc
	global_load_dwordx4 v[16:19], v[6:7], off
	global_load_dwordx4 v[8:11], v[4:5], off offset:16
	global_load_dwordx4 v[0:3], v[6:7], off offset:16
	global_load_dwordx2 v[79:80], v[4:5], off offset:32
	global_load_dwordx2 v[77:78], v[6:7], off offset:32
	ds_read2st64_b64 v[4:7], v99 offset0:6 offset1:9
	ds_read2st64_b64 v[20:23], v99 offset0:12 offset1:15
	;; [unrolled: 1-line block ×3, first 2 shown]
	s_waitcnt vmcnt(5) lgkmcnt(2)
	v_mul_f32_e32 v31, v5, v13
	v_fma_f32 v31, v4, v12, -v31
	v_mul_f32_e32 v32, v4, v13
	s_waitcnt lgkmcnt(1)
	v_mul_f32_e32 v4, v21, v15
	v_fma_f32 v35, v20, v14, -v4
	v_fmac_f32_e32 v32, v5, v12
	s_waitcnt vmcnt(4)
	v_mul_f32_e32 v4, v7, v17
	v_fma_f32 v38, v6, v16, -v4
	s_waitcnt vmcnt(3) lgkmcnt(0)
	v_mul_f32_e32 v4, v26, v9
	v_mul_f32_e32 v39, v6, v17
	v_fma_f32 v40, v25, v8, -v4
	v_mul_f32_e32 v25, v25, v9
	v_mul_f32_e32 v4, v23, v19
	v_fmac_f32_e32 v39, v7, v16
	v_fmac_f32_e32 v25, v26, v8
	v_fma_f32 v26, v22, v18, -v4
	ds_read2st64_b64 v[4:7], v99 offset0:24 offset1:27
	v_mul_f32_e32 v37, v20, v15
	s_waitcnt vmcnt(2)
	v_mul_f32_e32 v20, v28, v1
	v_mul_f32_e32 v41, v22, v19
	v_fma_f32 v42, v27, v0, -v20
	v_mul_f32_e32 v27, v27, v1
	s_waitcnt lgkmcnt(0)
	v_mul_f32_e32 v20, v5, v11
	v_fmac_f32_e32 v37, v21, v14
	v_fmac_f32_e32 v41, v23, v18
	;; [unrolled: 1-line block ×3, first 2 shown]
	v_fma_f32 v28, v4, v10, -v20
	ds_read2st64_b64 v[20:23], v99 offset0:30 offset1:33
	v_mul_f32_e32 v43, v4, v11
	v_mul_f32_e32 v4, v7, v3
	v_fma_f32 v44, v6, v2, -v4
	v_mul_f32_e32 v45, v6, v3
	s_waitcnt vmcnt(1) lgkmcnt(0)
	v_mul_f32_e32 v4, v21, v80
	v_fmac_f32_e32 v43, v5, v10
	v_fmac_f32_e32 v45, v7, v2
	v_fma_f32 v46, v20, v79, -v4
	ds_read2st64_b64 v[4:7], v99 offset1:3
	v_mul_f32_e32 v20, v20, v80
	v_fmac_f32_e32 v20, v21, v79
	s_waitcnt vmcnt(0)
	v_mul_f32_e32 v21, v23, v78
	v_fma_f32 v47, v22, v77, -v21
	v_mul_f32_e32 v48, v22, v78
	s_waitcnt lgkmcnt(0)
	v_add_f32_e32 v21, v5, v37
	v_fmac_f32_e32 v48, v23, v77
	v_add_f32_e32 v22, v21, v43
	v_sub_f32_e32 v23, v37, v43
	v_add_f32_e32 v21, v37, v43
	v_add_f32_e32 v37, v4, v35
	;; [unrolled: 1-line block ×5, first 2 shown]
	v_sub_f32_e32 v28, v35, v28
	v_add_f32_e32 v35, v31, v40
	v_fmac_f32_e32 v31, -0.5, v49
	v_add_f32_e32 v49, v32, v25
	v_add_f32_e32 v49, v49, v20
	v_sub_f32_e32 v50, v25, v20
	v_add_f32_e32 v20, v25, v20
	v_fmac_f32_e32 v32, -0.5, v20
	v_add_f32_e32 v25, v35, v46
	v_sub_f32_e32 v35, v40, v46
	v_mov_b32_e32 v20, v31
	v_mov_b32_e32 v40, v32
	v_fmac_f32_e32 v20, 0x3f5db3d7, v50
	v_fmac_f32_e32 v40, 0xbf5db3d7, v35
	v_mul_f32_e32 v46, 0x3f5db3d7, v40
	v_mul_f32_e32 v51, 0xbf5db3d7, v20
	v_fmac_f32_e32 v46, 0.5, v20
	v_fmac_f32_e32 v51, 0.5, v40
	v_mul_u32_u24_e32 v20, 36, v29
	v_fma_f32 v29, -0.5, v43, v4
	v_fma_f32 v40, -0.5, v21, v5
	v_add_lshl_u32 v108, v20, v30, 3
	v_mov_b32_e32 v30, v29
	v_mov_b32_e32 v43, v40
	v_fmac_f32_e32 v30, 0x3f5db3d7, v23
	v_fmac_f32_e32 v43, 0xbf5db3d7, v28
	v_add_f32_e32 v4, v37, v25
	v_add_f32_e32 v5, v22, v49
	;; [unrolled: 1-line block ×4, first 2 shown]
	v_fmac_f32_e32 v31, 0xbf5db3d7, v50
	v_fmac_f32_e32 v32, 0x3f5db3d7, v35
	s_barrier
	ds_write2_b64 v108, v[4:5], v[20:21] offset1:6
	v_sub_f32_e32 v5, v22, v49
	v_fmac_f32_e32 v29, 0xbf5db3d7, v23
	v_mul_f32_e32 v22, -0.5, v31
	v_mul_f32_e32 v23, -0.5, v32
	v_fmac_f32_e32 v40, 0x3f5db3d7, v28
	v_fmac_f32_e32 v22, 0x3f5db3d7, v32
	v_fmac_f32_e32 v23, 0xbf5db3d7, v31
	v_sub_f32_e32 v4, v37, v25
	v_add_f32_e32 v20, v29, v22
	v_add_f32_e32 v21, v40, v23
	ds_write2_b64 v108, v[20:21], v[4:5] offset0:12 offset1:18
	v_add_f32_e32 v5, v41, v45
	v_add_f32_e32 v4, v7, v41
	v_fmac_f32_e32 v7, -0.5, v5
	v_add_f32_e32 v5, v42, v47
	v_add_f32_e32 v25, v38, v42
	v_fmac_f32_e32 v38, -0.5, v5
	;; [unrolled: 3-line block ×3, first 2 shown]
	v_add_f32_e32 v5, v26, v44
	v_fma_f32 v31, -0.5, v5, v6
	v_add_f32_e32 v6, v6, v26
	v_sub_f32_e32 v27, v27, v48
	v_sub_f32_e32 v37, v42, v47
	v_mov_b32_e32 v35, v38
	v_fmac_f32_e32 v38, 0xbf5db3d7, v27
	v_mov_b32_e32 v42, v39
	v_fmac_f32_e32 v39, 0x3f5db3d7, v37
	v_sub_f32_e32 v22, v29, v22
	v_sub_f32_e32 v23, v40, v23
	v_add_f32_e32 v29, v6, v44
	v_sub_f32_e32 v6, v41, v45
	v_mov_b32_e32 v40, v31
	v_sub_f32_e32 v26, v26, v44
	v_mul_f32_e32 v20, -0.5, v39
	v_fmac_f32_e32 v40, 0x3f5db3d7, v6
	v_fmac_f32_e32 v31, 0xbf5db3d7, v6
	v_mul_f32_e32 v6, -0.5, v38
	v_mov_b32_e32 v32, v7
	v_fmac_f32_e32 v7, 0x3f5db3d7, v26
	v_fmac_f32_e32 v20, 0xbf5db3d7, v38
	;; [unrolled: 1-line block ×4, first 2 shown]
	v_add_f32_e32 v5, v7, v20
	v_sub_f32_e32 v7, v7, v20
	v_sub_f32_e32 v20, v30, v46
	v_add_f32_e32 v30, v4, v45
	v_fmac_f32_e32 v35, 0x3f5db3d7, v27
	v_add_f32_e32 v4, v31, v6
	v_sub_f32_e32 v6, v31, v6
	v_mul_f32_e32 v31, 0x3f5db3d7, v42
	v_sub_f32_e32 v21, v43, v51
	v_fmac_f32_e32 v31, 0.5, v35
	v_mul_f32_e32 v35, 0xbf5db3d7, v35
	v_fmac_f32_e32 v32, 0xbf5db3d7, v26
	v_add_f32_e32 v41, v25, v47
	v_add_f32_e32 v28, v28, v48
	v_fmac_f32_e32 v35, 0.5, v42
	ds_write2_b64 v108, v[20:21], v[22:23] offset0:24 offset1:30
	v_mad_legacy_u16 v20, v33, 36, v34
	v_add_f32_e32 v25, v29, v41
	v_add_f32_e32 v26, v30, v28
	v_sub_f32_e32 v27, v29, v41
	v_sub_f32_e32 v28, v30, v28
	v_add_f32_e32 v29, v40, v31
	v_add_f32_e32 v30, v32, v35
	v_lshlrev_b32_e32 v110, 3, v20
	v_sub_f32_e32 v31, v40, v31
	v_sub_f32_e32 v32, v32, v35
	ds_write2_b64 v110, v[25:26], v[29:30] offset1:6
	ds_write2_b64 v110, v[4:5], v[27:28] offset0:12 offset1:18
	ds_write2_b64 v110, v[31:32], v[6:7] offset0:24 offset1:30
	v_mov_b32_e32 v4, 57
	v_mul_lo_u16_sdwa v4, v104, v4 dst_sel:DWORD dst_unused:UNUSED_PAD src0_sel:BYTE_0 src1_sel:DWORD
	v_lshrrev_b16_e32 v27, 11, v4
	v_mul_lo_u16_e32 v4, 36, v27
	v_sub_u16_e32 v4, v104, v4
	v_and_b32_e32 v43, 0xff, v4
	v_mad_u64_u32 v[25:26], s[12:13], v43, 24, s[10:11]
	s_mov_b32 s12, 0xe38f
	v_mul_u32_u24_sdwa v44, v24, s12 dst_sel:DWORD dst_unused:UNUSED_PAD src0_sel:WORD_0 src1_sel:DWORD
	v_lshrrev_b32_e32 v45, 21, v44
	v_mul_lo_u16_e32 v20, 36, v45
	v_sub_u16_e32 v46, v24, v20
	v_mul_lo_u16_e32 v20, 24, v46
	v_add_co_u32_e32 v32, vcc, s10, v20
	s_waitcnt lgkmcnt(0)
	s_barrier
	global_load_dwordx4 v[4:7], v[25:26], off offset:240
	v_addc_co_u32_e32 v33, vcc, 0, v36, vcc
	global_load_dwordx4 v[20:23], v[32:33], off offset:240
	s_movk_i32 s13, 0x180
	v_add_co_u32_e32 v47, vcc, s13, v104
	v_mul_u32_u24_sdwa v48, v47, s12 dst_sel:DWORD dst_unused:UNUSED_PAD src0_sel:WORD_0 src1_sel:DWORD
	v_lshrrev_b32_e32 v49, 21, v48
	v_mul_lo_u16_e32 v28, 36, v49
	v_sub_u16_e32 v50, v47, v28
	v_mul_lo_u16_e32 v28, 24, v50
	v_add_co_u32_e32 v34, vcc, s10, v28
	v_addc_co_u32_e32 v35, vcc, 0, v36, vcc
	global_load_dwordx4 v[28:31], v[34:35], off offset:240
	global_load_dwordx2 v[81:82], v[25:26], off offset:256
	global_load_dwordx2 v[85:86], v[32:33], off offset:256
	;; [unrolled: 1-line block ×3, first 2 shown]
	ds_read2st64_b64 v[32:35], v99 offset0:18 offset1:21
	ds_read2st64_b64 v[37:40], v99 offset0:12 offset1:15
	v_mul_u32_u24_e32 v27, 0x90, v27
	s_movk_i32 s12, 0x90
	v_cmp_gt_u16_e32 vcc, s12, v104
	s_waitcnt vmcnt(5) lgkmcnt(1)
	v_mul_f32_e32 v25, v33, v7
	v_fma_f32 v25, v32, v6, -v25
	v_mul_f32_e32 v26, v32, v7
	s_waitcnt vmcnt(4)
	v_mul_f32_e32 v32, v35, v23
	v_fma_f32 v51, v34, v22, -v32
	v_mul_f32_e32 v87, v34, v23
	s_waitcnt lgkmcnt(0)
	v_mul_f32_e32 v32, v38, v21
	v_fmac_f32_e32 v26, v33, v6
	v_fmac_f32_e32 v87, v35, v22
	v_fma_f32 v88, v37, v20, -v32
	ds_read2st64_b64 v[32:35], v99 offset0:24 offset1:27
	v_mul_f32_e32 v89, v37, v21
	v_fmac_f32_e32 v89, v38, v20
	s_waitcnt vmcnt(3)
	v_mul_f32_e32 v37, v40, v29
	v_fma_f32 v90, v39, v28, -v37
	v_mul_f32_e32 v91, v39, v29
	s_waitcnt vmcnt(2) lgkmcnt(0)
	v_mul_f32_e32 v37, v35, v82
	v_fmac_f32_e32 v91, v40, v28
	v_fma_f32 v41, v34, v81, -v37
	ds_read2st64_b64 v[37:40], v99 offset0:30 offset1:33
	v_mul_f32_e32 v42, v34, v82
	v_mul_f32_e32 v34, v33, v31
	v_fma_f32 v92, v32, v30, -v34
	v_mul_f32_e32 v93, v32, v31
	s_waitcnt vmcnt(1) lgkmcnt(0)
	v_mul_f32_e32 v32, v38, v86
	v_fmac_f32_e32 v42, v35, v81
	v_fmac_f32_e32 v93, v33, v30
	v_fma_f32 v94, v37, v85, -v32
	ds_read2st64_b64 v[32:35], v99 offset0:6 offset1:9
	v_mul_f32_e32 v95, v37, v86
	s_waitcnt vmcnt(0)
	v_mul_f32_e32 v37, v40, v84
	v_mul_f32_e32 v97, v39, v84
	v_fmac_f32_e32 v95, v38, v85
	v_fma_f32 v96, v39, v83, -v37
	v_fmac_f32_e32 v97, v40, v83
	ds_read2st64_b64 v[37:40], v99 offset1:3
	s_waitcnt lgkmcnt(1)
	v_mul_f32_e32 v98, v35, v5
	v_fma_f32 v98, v34, v4, -v98
	v_mul_f32_e32 v34, v34, v5
	v_fmac_f32_e32 v34, v35, v4
	s_waitcnt lgkmcnt(0)
	v_sub_f32_e32 v111, v37, v25
	v_sub_f32_e32 v112, v38, v26
	;; [unrolled: 1-line block ×4, first 2 shown]
	v_fma_f32 v25, v98, 2.0, -v41
	v_fma_f32 v26, v34, 2.0, -v42
	;; [unrolled: 1-line block ×4, first 2 shown]
	v_sub_f32_e32 v25, v34, v25
	v_sub_f32_e32 v26, v35, v26
	;; [unrolled: 1-line block ×3, first 2 shown]
	v_add_f32_e32 v38, v112, v41
	v_fma_f32 v34, v34, 2.0, -v25
	v_fma_f32 v35, v35, 2.0, -v26
	;; [unrolled: 1-line block ×4, first 2 shown]
	v_add_lshl_u32 v111, v27, v43, 3
	s_barrier
	ds_write2_b64 v111, v[34:35], v[41:42] offset1:36
	ds_write2_b64 v111, v[25:26], v[37:38] offset0:72 offset1:108
	v_sub_f32_e32 v27, v39, v51
	v_sub_f32_e32 v41, v40, v87
	;; [unrolled: 1-line block ×4, first 2 shown]
	v_fma_f32 v34, v39, 2.0, -v27
	v_fma_f32 v35, v40, 2.0, -v41
	;; [unrolled: 1-line block ×4, first 2 shown]
	v_sub_f32_e32 v37, v27, v37
	v_sub_f32_e32 v25, v34, v25
	;; [unrolled: 1-line block ×3, first 2 shown]
	v_add_f32_e32 v38, v41, v38
	v_fma_f32 v39, v27, 2.0, -v37
	v_mad_legacy_u16 v27, v45, s12, v46
	v_fma_f32 v34, v34, 2.0, -v25
	v_fma_f32 v35, v35, 2.0, -v26
	;; [unrolled: 1-line block ×3, first 2 shown]
	v_lshlrev_b32_e32 v112, 3, v27
	ds_write2_b64 v112, v[34:35], v[39:40] offset1:36
	ds_write2_b64 v112, v[25:26], v[37:38] offset0:72 offset1:108
	v_sub_f32_e32 v27, v32, v92
	v_sub_f32_e32 v38, v33, v93
	;; [unrolled: 1-line block ×4, first 2 shown]
	v_fma_f32 v32, v32, 2.0, -v27
	v_fma_f32 v33, v33, 2.0, -v38
	;; [unrolled: 1-line block ×4, first 2 shown]
	v_sub_f32_e32 v34, v27, v34
	v_sub_f32_e32 v25, v32, v25
	;; [unrolled: 1-line block ×3, first 2 shown]
	v_add_f32_e32 v35, v38, v35
	v_fma_f32 v37, v27, 2.0, -v34
	v_mad_legacy_u16 v27, v49, s12, v50
	v_fma_f32 v32, v32, 2.0, -v25
	v_fma_f32 v33, v33, 2.0, -v26
	;; [unrolled: 1-line block ×3, first 2 shown]
	v_lshlrev_b32_e32 v113, 3, v27
	ds_write2_b64 v113, v[32:33], v[37:38] offset1:36
	ds_write2_b64 v113, v[25:26], v[34:35] offset0:72 offset1:108
	v_add_u32_e32 v25, 0xffffff70, v104
	v_cndmask_b32_e32 v93, v25, v104, vcc
	v_mul_i32_i24_e32 v26, 24, v93
	v_mul_hi_i32_i24_e32 v25, 24, v93
	v_add_co_u32_e32 v40, vcc, s10, v26
	v_lshrrev_b32_e32 v94, 23, v44
	v_addc_co_u32_e32 v41, vcc, v36, v25, vcc
	v_mul_lo_u16_e32 v25, 0x90, v94
	v_sub_u16_e32 v95, v24, v25
	s_waitcnt lgkmcnt(0)
	s_barrier
	global_load_dwordx4 v[24:27], v[40:41], off offset:1104
	v_mul_lo_u16_e32 v32, 24, v95
	v_add_co_u32_e32 v42, vcc, s10, v32
	v_addc_co_u32_e32 v43, vcc, 0, v36, vcc
	global_load_dwordx4 v[32:35], v[42:43], off offset:1104
	v_lshrrev_b32_e32 v96, 23, v48
	v_mul_lo_u16_e32 v37, 0x90, v96
	v_sub_u16_e32 v97, v47, v37
	v_mul_lo_u16_e32 v37, 24, v97
	v_add_co_u32_e32 v44, vcc, s10, v37
	v_addc_co_u32_e32 v45, vcc, 0, v36, vcc
	global_load_dwordx4 v[36:39], v[44:45], off offset:1104
	global_load_dwordx2 v[87:88], v[40:41], off offset:1120
	global_load_dwordx2 v[91:92], v[42:43], off offset:1120
	;; [unrolled: 1-line block ×3, first 2 shown]
	ds_read2st64_b64 v[40:43], v99 offset0:18 offset1:21
	s_movk_i32 s12, 0x8f
	v_cmp_lt_u16_e32 vcc, s12, v104
	s_movk_i32 s12, 0x240
	s_waitcnt vmcnt(5) lgkmcnt(0)
	v_mul_f32_e32 v44, v41, v27
	v_fma_f32 v48, v40, v26, -v44
	ds_read2st64_b64 v[44:47], v99 offset0:12 offset1:15
	v_mul_f32_e32 v49, v40, v27
	v_fmac_f32_e32 v49, v41, v26
	s_waitcnt vmcnt(4)
	v_mul_f32_e32 v40, v43, v35
	v_fma_f32 v98, v42, v34, -v40
	v_mul_f32_e32 v115, v42, v35
	s_waitcnt lgkmcnt(0)
	v_mul_f32_e32 v40, v45, v33
	v_fmac_f32_e32 v115, v43, v34
	v_fma_f32 v116, v44, v32, -v40
	ds_read2st64_b64 v[40:43], v99 offset0:24 offset1:27
	v_mul_f32_e32 v118, v44, v33
	s_waitcnt vmcnt(3)
	v_mul_f32_e32 v44, v47, v37
	v_fma_f32 v119, v46, v36, -v44
	v_fmac_f32_e32 v118, v45, v32
	s_waitcnt vmcnt(2) lgkmcnt(0)
	v_mul_f32_e32 v44, v43, v88
	v_mul_f32_e32 v51, v42, v88
	v_fma_f32 v50, v42, v87, -v44
	v_fmac_f32_e32 v51, v43, v87
	ds_read2st64_b64 v[42:45], v99 offset0:30 offset1:33
	v_mul_f32_e32 v120, v46, v37
	v_mul_f32_e32 v46, v41, v39
	v_fma_f32 v121, v40, v38, -v46
	v_mul_f32_e32 v122, v40, v39
	s_waitcnt vmcnt(1) lgkmcnt(0)
	v_mul_f32_e32 v40, v43, v92
	v_mul_f32_e32 v124, v42, v92
	v_fmac_f32_e32 v122, v41, v38
	v_fma_f32 v123, v42, v91, -v40
	v_fmac_f32_e32 v124, v43, v91
	ds_read2st64_b64 v[40:43], v99 offset0:6 offset1:9
	s_waitcnt vmcnt(0)
	v_mul_f32_e32 v46, v45, v90
	v_mul_f32_e32 v126, v44, v90
	v_fmac_f32_e32 v120, v47, v36
	v_fma_f32 v125, v44, v89, -v46
	v_fmac_f32_e32 v126, v45, v89
	ds_read2st64_b64 v[44:47], v99 offset1:3
	s_waitcnt lgkmcnt(1)
	v_mul_f32_e32 v114, v43, v25
	v_fma_f32 v114, v42, v24, -v114
	v_mul_f32_e32 v42, v42, v25
	v_fmac_f32_e32 v42, v43, v24
	s_waitcnt lgkmcnt(0)
	v_sub_f32_e32 v127, v45, v49
	v_sub_f32_e32 v49, v114, v50
	;; [unrolled: 1-line block ×4, first 2 shown]
	v_fma_f32 v43, v114, 2.0, -v49
	v_mov_b32_e32 v114, 0x240
	v_fma_f32 v50, v42, 2.0, -v48
	v_fma_f32 v44, v44, 2.0, -v117
	;; [unrolled: 1-line block ×3, first 2 shown]
	v_sub_f32_e32 v48, v117, v48
	v_cndmask_b32_e32 v114, 0, v114, vcc
	v_sub_f32_e32 v42, v44, v43
	v_sub_f32_e32 v43, v45, v50
	v_fma_f32 v50, v117, 2.0, -v48
	v_add_lshl_u32 v117, v93, v114, 3
	v_add_f32_e32 v49, v127, v49
	v_add_u32_e32 v114, 0x800, v117
	v_fma_f32 v44, v44, 2.0, -v42
	v_fma_f32 v45, v45, 2.0, -v43
	v_fma_f32 v51, v127, 2.0, -v49
	s_barrier
	ds_write2_b64 v114, v[42:43], v[48:49] offset0:32 offset1:176
	v_sub_f32_e32 v48, v46, v98
	v_sub_f32_e32 v49, v47, v115
	ds_write2_b64 v117, v[44:45], v[50:51] offset1:144
	v_fma_f32 v44, v46, 2.0, -v48
	v_fma_f32 v45, v47, 2.0, -v49
	v_sub_f32_e32 v47, v116, v123
	v_sub_f32_e32 v46, v118, v124
	v_fma_f32 v42, v116, 2.0, -v47
	v_fma_f32 v43, v118, 2.0, -v46
	v_mad_legacy_u16 v50, v94, s12, v95
	v_sub_f32_e32 v42, v44, v42
	v_sub_f32_e32 v43, v45, v43
	;; [unrolled: 1-line block ×3, first 2 shown]
	v_add_f32_e32 v47, v49, v47
	v_lshlrev_b32_e32 v115, 3, v50
	v_fma_f32 v44, v44, 2.0, -v42
	v_fma_f32 v45, v45, 2.0, -v43
	;; [unrolled: 1-line block ×4, first 2 shown]
	v_add_u32_e32 v116, 0x800, v115
	v_mad_u64_u32 v[93:94], s[10:11], v104, 24, s[10:11]
	ds_write2_b64 v115, v[44:45], v[48:49] offset1:144
	ds_write2_b64 v116, v[42:43], v[46:47] offset0:32 offset1:176
	v_sub_f32_e32 v46, v40, v121
	v_sub_f32_e32 v47, v41, v122
	;; [unrolled: 1-line block ×4, first 2 shown]
	v_mad_legacy_u16 v48, v96, s12, v97
	v_fma_f32 v42, v40, 2.0, -v46
	v_fma_f32 v43, v41, 2.0, -v47
	;; [unrolled: 1-line block ×4, first 2 shown]
	v_lshlrev_b32_e32 v118, 3, v48
	v_sub_f32_e32 v40, v42, v40
	v_sub_f32_e32 v41, v43, v41
	;; [unrolled: 1-line block ×3, first 2 shown]
	v_add_f32_e32 v45, v47, v45
	v_add_u32_e32 v119, 0x800, v118
	v_fma_f32 v42, v42, 2.0, -v40
	ds_write2_b64 v119, v[40:41], v[44:45] offset0:32 offset1:176
	v_add_co_u32_e32 v40, vcc, s9, v93
	v_fma_f32 v43, v43, 2.0, -v41
	v_fma_f32 v46, v46, 2.0, -v44
	;; [unrolled: 1-line block ×3, first 2 shown]
	v_addc_co_u32_e32 v41, vcc, 0, v94, vcc
	ds_write2_b64 v118, v[42:43], v[46:47] offset1:144
	s_waitcnt lgkmcnt(0)
	s_barrier
	global_load_dwordx4 v[40:43], v[40:41], off offset:464
	v_add_co_u32_e32 v44, vcc, s14, v93
	v_addc_co_u32_e32 v45, vcc, 0, v94, vcc
	global_load_dwordx4 v[44:47], v[44:45], off offset:976
	v_add_co_u32_e32 v48, vcc, s15, v93
	v_addc_co_u32_e32 v49, vcc, 0, v94, vcc
	s_movk_i32 s10, 0x11d0
	v_add_co_u32_e32 v95, vcc, s10, v93
	global_load_dwordx4 v[48:51], v[48:49], off offset:1488
	v_addc_co_u32_e32 v96, vcc, 0, v94, vcc
	global_load_dwordx2 v[95:96], v[95:96], off offset:16
	s_movk_i32 s10, 0x23d0
	v_add_co_u32_e32 v97, vcc, s10, v93
	v_addc_co_u32_e32 v98, vcc, 0, v94, vcc
	global_load_dwordx2 v[97:98], v[97:98], off offset:16
	s_movk_i32 s10, 0x35d0
	v_add_co_u32_e32 v93, vcc, s10, v93
	v_addc_co_u32_e32 v94, vcc, 0, v94, vcc
	global_load_dwordx2 v[93:94], v[93:94], off offset:16
	ds_read2st64_b64 v[120:123], v99 offset0:18 offset1:21
	s_waitcnt vmcnt(5) lgkmcnt(0)
	v_mul_f32_e32 v124, v121, v43
	v_fma_f32 v128, v120, v42, -v124
	ds_read2st64_b64 v[124:127], v99 offset0:12 offset1:15
	v_mul_f32_e32 v129, v120, v43
	v_fmac_f32_e32 v129, v121, v42
	s_waitcnt vmcnt(4)
	v_mul_f32_e32 v120, v123, v47
	v_fma_f32 v130, v122, v46, -v120
	v_mul_f32_e32 v131, v122, v47
	s_waitcnt lgkmcnt(0)
	v_mul_f32_e32 v120, v125, v45
	v_fmac_f32_e32 v131, v123, v46
	v_fma_f32 v132, v124, v44, -v120
	ds_read2st64_b64 v[120:123], v99 offset0:24 offset1:27
	v_mul_f32_e32 v133, v124, v45
	s_waitcnt vmcnt(3)
	v_mul_f32_e32 v124, v127, v49
	v_fma_f32 v134, v126, v48, -v124
	v_fmac_f32_e32 v133, v125, v44
	s_waitcnt vmcnt(2) lgkmcnt(0)
	v_mul_f32_e32 v124, v123, v96
	v_mul_f32_e32 v137, v122, v96
	v_fma_f32 v136, v122, v95, -v124
	v_fmac_f32_e32 v137, v123, v95
	ds_read2st64_b64 v[122:125], v99 offset0:30 offset1:33
	v_mul_f32_e32 v135, v126, v49
	v_mul_f32_e32 v126, v121, v51
	v_fma_f32 v138, v120, v50, -v126
	v_mul_f32_e32 v139, v120, v51
	s_waitcnt vmcnt(1) lgkmcnt(0)
	v_mul_f32_e32 v120, v123, v98
	v_mul_f32_e32 v141, v122, v98
	v_fmac_f32_e32 v139, v121, v50
	v_fma_f32 v140, v122, v97, -v120
	v_fmac_f32_e32 v141, v123, v97
	ds_read2st64_b64 v[120:123], v99 offset1:3
	s_waitcnt vmcnt(0)
	v_mul_f32_e32 v126, v125, v94
	v_mul_f32_e32 v143, v124, v94
	v_fmac_f32_e32 v135, v127, v48
	v_fma_f32 v142, v124, v93, -v126
	v_fmac_f32_e32 v143, v125, v93
	ds_read2st64_b64 v[124:127], v99 offset0:6 offset1:9
	s_waitcnt lgkmcnt(1)
	v_sub_f32_e32 v128, v120, v128
	v_fma_f32 v144, v120, 2.0, -v128
	v_sub_f32_e32 v129, v121, v129
	v_sub_f32_e32 v130, v122, v130
	s_waitcnt lgkmcnt(0)
	v_mul_f32_e32 v120, v127, v41
	v_fma_f32 v148, v126, v40, -v120
	v_mul_f32_e32 v126, v126, v41
	v_fmac_f32_e32 v126, v127, v40
	v_sub_f32_e32 v127, v148, v136
	v_sub_f32_e32 v136, v126, v137
	;; [unrolled: 1-line block ×3, first 2 shown]
	v_fma_f32 v145, v121, 2.0, -v129
	v_sub_f32_e32 v120, v128, v136
	v_add_f32_e32 v121, v129, v127
	v_fma_f32 v146, v122, 2.0, -v130
	v_fma_f32 v147, v123, 2.0, -v131
	;; [unrolled: 1-line block ×4, first 2 shown]
	ds_write_b64 v99, v[122:123] offset:4608
	v_fma_f32 v122, v148, 2.0, -v127
	v_fma_f32 v123, v126, 2.0, -v136
	v_sub_f32_e32 v122, v144, v122
	v_sub_f32_e32 v123, v145, v123
	;; [unrolled: 1-line block ×4, first 2 shown]
	ds_write_b64 v99, v[122:123] offset:9216
	ds_write_b64 v99, v[120:121] offset:13824
	v_fma_f32 v120, v132, 2.0, -v128
	v_fma_f32 v121, v133, 2.0, -v129
	v_sub_f32_e32 v120, v146, v120
	v_sub_f32_e32 v121, v147, v121
	v_fma_f32 v126, v144, 2.0, -v122
	v_fma_f32 v127, v145, 2.0, -v123
	;; [unrolled: 1-line block ×4, first 2 shown]
	ds_write2st64_b64 v99, v[126:127], v[122:123] offset1:3
	v_sub_f32_e32 v126, v124, v138
	v_sub_f32_e32 v127, v125, v139
	;; [unrolled: 1-line block ×3, first 2 shown]
	v_add_f32_e32 v123, v131, v128
	v_sub_f32_e32 v128, v134, v142
	v_sub_f32_e32 v129, v135, v143
	v_fma_f32 v132, v124, 2.0, -v126
	v_fma_f32 v133, v125, 2.0, -v127
	;; [unrolled: 1-line block ×4, first 2 shown]
	ds_write_b64 v99, v[122:123] offset:15360
	v_sub_f32_e32 v122, v126, v129
	v_add_f32_e32 v123, v127, v128
	v_fma_f32 v126, v126, 2.0, -v122
	v_fma_f32 v127, v127, 2.0, -v123
	ds_write2st64_b64 v99, v[124:125], v[126:127] offset0:12 offset1:15
	v_fma_f32 v124, v134, 2.0, -v128
	v_fma_f32 v125, v135, 2.0, -v129
	v_sub_f32_e32 v124, v132, v124
	v_sub_f32_e32 v125, v133, v125
	ds_write2st64_b64 v99, v[120:121], v[124:125] offset0:21 offset1:24
	v_fma_f32 v120, v132, 2.0, -v124
	v_fma_f32 v121, v133, 2.0, -v125
	ds_write_b64 v99, v[120:121] offset:3072
	ds_write_b64 v99, v[122:123] offset:16896
	s_waitcnt lgkmcnt(0)
	s_barrier
	global_load_dwordx2 v[124:125], v99, s[6:7]
	global_load_dwordx2 v[128:129], v99, s[6:7] offset:1536
	global_load_dwordx2 v[130:131], v99, s[6:7] offset:3072
	v_mov_b32_e32 v120, s7
	v_add_co_u32_e32 v122, vcc, s6, v99
	v_addc_co_u32_e32 v123, vcc, 0, v120, vcc
	v_add_co_u32_e32 v120, vcc, s9, v122
	v_addc_co_u32_e32 v121, vcc, 0, v123, vcc
	global_load_dwordx2 v[132:133], v[120:121], off offset:512
	global_load_dwordx2 v[134:135], v105, s[6:7]
	global_load_dwordx2 v[136:137], v[120:121], off offset:3584
	v_add_co_u32_e32 v120, vcc, s14, v122
	v_addc_co_u32_e32 v121, vcc, 0, v123, vcc
	global_load_dwordx2 v[138:139], v[120:121], off offset:1024
	global_load_dwordx2 v[140:141], v[120:121], off offset:2560
	v_add_co_u32_e32 v120, vcc, s15, v122
	v_addc_co_u32_e32 v121, vcc, 0, v123, vcc
	global_load_dwordx2 v[142:143], v[120:121], off offset:1536
	s_nop 0
	global_load_dwordx2 v[105:106], v106, s[6:7]
	v_add_co_u32_e32 v122, vcc, s8, v122
	v_addc_co_u32_e32 v123, vcc, 0, v123, vcc
	global_load_dwordx2 v[144:145], v[122:123], off offset:512
	global_load_dwordx2 v[146:147], v[120:121], off offset:3072
	ds_read2st64_b64 v[120:123], v99 offset1:3
	s_mul_i32 s8, s1, 0x1800
	s_waitcnt vmcnt(11) lgkmcnt(0)
	v_mul_f32_e32 v126, v121, v125
	v_mul_f32_e32 v127, v120, v125
	v_fma_f32 v126, v120, v124, -v126
	v_fmac_f32_e32 v127, v121, v124
	ds_write_b64 v99, v[126:127]
	ds_read2st64_b64 v[124:127], v99 offset0:6 offset1:9
	s_waitcnt vmcnt(10)
	v_mul_f32_e32 v120, v123, v129
	v_fma_f32 v148, v122, v128, -v120
	v_mul_f32_e32 v149, v122, v129
	v_fmac_f32_e32 v149, v123, v128
	s_waitcnt vmcnt(9) lgkmcnt(0)
	v_mul_f32_e32 v120, v125, v131
	v_fma_f32 v128, v124, v130, -v120
	ds_read2st64_b64 v[120:123], v99 offset0:12 offset1:15
	v_mul_f32_e32 v129, v124, v131
	s_waitcnt vmcnt(8)
	v_mul_f32_e32 v124, v127, v133
	v_fmac_f32_e32 v129, v125, v130
	v_fma_f32 v130, v126, v132, -v124
	v_mul_f32_e32 v131, v126, v133
	s_waitcnt vmcnt(7) lgkmcnt(0)
	v_mul_f32_e32 v124, v121, v135
	v_fmac_f32_e32 v131, v127, v132
	v_fma_f32 v132, v120, v134, -v124
	ds_read2st64_b64 v[124:127], v99 offset0:18 offset1:21
	v_mul_f32_e32 v133, v120, v135
	s_waitcnt vmcnt(6)
	v_mul_f32_e32 v120, v123, v137
	v_fmac_f32_e32 v133, v121, v134
	v_fma_f32 v134, v122, v136, -v120
	v_mul_f32_e32 v135, v122, v137
	s_waitcnt vmcnt(5) lgkmcnt(0)
	v_mul_f32_e32 v120, v125, v139
	v_fmac_f32_e32 v135, v123, v136
	;; [unrolled: 11-line block ×3, first 2 shown]
	v_fma_f32 v140, v120, v105, -v124
	ds_read2st64_b64 v[124:127], v99 offset0:30 offset1:33
	v_mul_f32_e32 v141, v120, v106
	v_fmac_f32_e32 v141, v121, v105
	v_mul_f32_e32 v105, v123, v143
	v_mul_f32_e32 v106, v122, v143
	v_fma_f32 v105, v122, v142, -v105
	v_fmac_f32_e32 v106, v123, v142
	s_waitcnt vmcnt(0) lgkmcnt(0)
	v_mul_f32_e32 v120, v125, v147
	v_mul_f32_e32 v121, v124, v147
	;; [unrolled: 1-line block ×4, first 2 shown]
	v_fma_f32 v120, v124, v146, -v120
	v_fmac_f32_e32 v121, v125, v146
	v_fma_f32 v122, v126, v144, -v122
	v_fmac_f32_e32 v123, v127, v144
	ds_write2st64_b64 v99, v[148:149], v[128:129] offset0:3 offset1:6
	ds_write2st64_b64 v99, v[130:131], v[132:133] offset0:9 offset1:12
	;; [unrolled: 1-line block ×5, first 2 shown]
	ds_write_b64 v99, v[122:123] offset:16896
	s_waitcnt lgkmcnt(0)
	s_barrier
	ds_read2st64_b64 v[120:123], v99 offset0:18 offset1:21
	ds_read2st64_b64 v[124:127], v99 offset0:30 offset1:33
	;; [unrolled: 1-line block ×3, first 2 shown]
	s_waitcnt lgkmcnt(1)
	v_add_f32_e32 v132, v121, v125
	v_add_f32_e32 v105, v120, v124
	s_waitcnt lgkmcnt(0)
	v_fma_f32 v148, -0.5, v132, v129
	ds_read2st64_b64 v[132:135], v99 offset1:3
	ds_read2st64_b64 v[136:139], v99 offset0:12 offset1:15
	ds_read2st64_b64 v[140:143], v99 offset0:24 offset1:27
	v_fma_f32 v105, -0.5, v105, v128
	v_sub_f32_e32 v149, v120, v124
	v_mov_b32_e32 v145, v148
	v_sub_f32_e32 v106, v121, v125
	v_mov_b32_e32 v144, v105
	v_fmac_f32_e32 v145, 0x3f5db3d7, v149
	v_fmac_f32_e32 v144, 0xbf5db3d7, v106
	v_mul_f32_e32 v150, 0xbf5db3d7, v145
	v_mul_f32_e32 v151, 0.5, v145
	v_fmac_f32_e32 v150, 0.5, v144
	v_fmac_f32_e32 v151, 0x3f5db3d7, v144
	s_waitcnt lgkmcnt(1)
	v_add_f32_e32 v144, v132, v136
	s_waitcnt lgkmcnt(0)
	v_add_f32_e32 v152, v144, v140
	v_add_f32_e32 v144, v136, v140
	v_fma_f32 v132, -0.5, v144, v132
	v_sub_f32_e32 v153, v137, v141
	v_add_f32_e32 v144, v133, v137
	v_add_f32_e32 v137, v137, v141
	v_fma_f32 v133, -0.5, v137, v133
	v_mov_b32_e32 v154, v132
	v_sub_f32_e32 v136, v136, v140
	v_mov_b32_e32 v137, v133
	v_add_f32_e32 v120, v128, v120
	v_add_f32_e32 v121, v129, v121
	v_fmac_f32_e32 v154, 0xbf5db3d7, v153
	v_add_f32_e32 v155, v144, v141
	v_fmac_f32_e32 v137, 0x3f5db3d7, v136
	v_add_f32_e32 v120, v120, v124
	v_add_f32_e32 v121, v121, v125
	;; [unrolled: 1-line block ×6, first 2 shown]
	v_fmac_f32_e32 v148, 0xbf5db3d7, v149
	s_barrier
	ds_write_b128 v109, v[144:147]
	v_sub_f32_e32 v146, v152, v120
	v_fmac_f32_e32 v105, 0x3f5db3d7, v106
	v_mul_f32_e32 v106, 0xbf5db3d7, v148
	v_mul_f32_e32 v120, -0.5, v148
	v_fmac_f32_e32 v132, 0x3f5db3d7, v153
	v_fmac_f32_e32 v133, 0xbf5db3d7, v136
	v_fmac_f32_e32 v106, -0.5, v105
	v_fmac_f32_e32 v120, 0x3f5db3d7, v105
	v_sub_f32_e32 v147, v155, v121
	v_add_f32_e32 v144, v132, v106
	v_add_f32_e32 v145, v133, v120
	ds_write_b128 v109, v[144:147] offset:16
	v_sub_f32_e32 v146, v132, v106
	v_sub_f32_e32 v129, v123, v127
	v_add_f32_e32 v132, v131, v123
	v_add_f32_e32 v123, v123, v127
	v_sub_f32_e32 v147, v133, v120
	v_add_f32_e32 v120, v135, v139
	v_add_f32_e32 v121, v139, v143
	;; [unrolled: 1-line block ×3, first 2 shown]
	v_fmac_f32_e32 v131, -0.5, v123
	v_add_f32_e32 v106, v138, v142
	v_add_f32_e32 v125, v120, v143
	;; [unrolled: 1-line block ×3, first 2 shown]
	v_sub_f32_e32 v133, v122, v126
	v_fmac_f32_e32 v135, -0.5, v121
	v_fma_f32 v128, -0.5, v128, v130
	v_mov_b32_e32 v121, v131
	v_sub_f32_e32 v144, v154, v150
	v_sub_f32_e32 v145, v137, v151
	v_add_f32_e32 v126, v120, v126
	v_mov_b32_e32 v120, v128
	v_fmac_f32_e32 v121, 0x3f5db3d7, v133
	v_fma_f32 v106, -0.5, v106, v134
	ds_write_b128 v109, v[144:147] offset:32
	v_add_f32_e32 v105, v134, v138
	v_sub_f32_e32 v109, v139, v143
	v_sub_f32_e32 v124, v138, v142
	v_add_f32_e32 v127, v132, v127
	v_fmac_f32_e32 v120, 0xbf5db3d7, v129
	v_mul_f32_e32 v130, 0xbf5db3d7, v121
	v_mul_f32_e32 v132, 0.5, v121
	v_mov_b32_e32 v134, v106
	v_mov_b32_e32 v136, v135
	v_fmac_f32_e32 v131, 0xbf5db3d7, v133
	v_add_f32_e32 v105, v105, v142
	v_fmac_f32_e32 v130, 0.5, v120
	v_fmac_f32_e32 v132, 0x3f5db3d7, v120
	v_fmac_f32_e32 v134, 0xbf5db3d7, v109
	;; [unrolled: 1-line block ×3, first 2 shown]
	v_mul_f32_e32 v133, 0xbf5db3d7, v131
	v_mul_f32_e32 v131, -0.5, v131
	v_fmac_f32_e32 v128, 0x3f5db3d7, v129
	v_add_f32_e32 v120, v105, v126
	v_add_f32_e32 v122, v134, v130
	;; [unrolled: 1-line block ×4, first 2 shown]
	v_fmac_f32_e32 v106, 0x3f5db3d7, v109
	v_fmac_f32_e32 v135, 0xbf5db3d7, v124
	v_fmac_f32_e32 v133, -0.5, v128
	v_fmac_f32_e32 v131, 0x3f5db3d7, v128
	ds_write_b128 v107, v[120:123]
	v_sub_f32_e32 v122, v105, v126
	v_sub_f32_e32 v123, v125, v127
	v_add_f32_e32 v120, v106, v133
	v_add_f32_e32 v121, v135, v131
	ds_write_b128 v107, v[120:123] offset:16
	v_sub_f32_e32 v123, v135, v131
	v_sub_f32_e32 v120, v134, v130
	;; [unrolled: 1-line block ×4, first 2 shown]
	ds_write_b128 v107, v[120:123] offset:32
	s_waitcnt lgkmcnt(0)
	s_barrier
	ds_read2st64_b64 v[120:123], v99 offset0:6 offset1:9
	ds_read2st64_b64 v[124:127], v99 offset0:12 offset1:15
	s_waitcnt lgkmcnt(1)
	v_mul_f32_e32 v105, v13, v121
	v_mul_f32_e32 v13, v13, v120
	v_fmac_f32_e32 v105, v12, v120
	v_fma_f32 v106, v12, v121, -v13
	s_waitcnt lgkmcnt(0)
	v_mul_f32_e32 v12, v15, v124
	v_mul_f32_e32 v107, v15, v125
	v_fma_f32 v109, v14, v125, -v12
	v_mul_f32_e32 v120, v17, v123
	v_mul_f32_e32 v12, v17, v122
	v_fmac_f32_e32 v107, v14, v124
	v_fmac_f32_e32 v120, v16, v122
	v_fma_f32 v121, v16, v123, -v12
	v_mul_f32_e32 v122, v19, v127
	ds_read2st64_b64 v[12:15], v99 offset0:18 offset1:21
	v_mul_f32_e32 v16, v19, v126
	v_fmac_f32_e32 v122, v18, v126
	v_fma_f32 v123, v18, v127, -v16
	ds_read2st64_b64 v[16:19], v99 offset0:24 offset1:27
	s_waitcnt lgkmcnt(1)
	v_mul_f32_e32 v124, v9, v13
	v_mul_f32_e32 v9, v9, v12
	v_fmac_f32_e32 v124, v8, v12
	v_fma_f32 v12, v8, v13, -v9
	s_waitcnt lgkmcnt(0)
	v_mul_f32_e32 v13, v11, v17
	v_mul_f32_e32 v8, v11, v16
	v_fmac_f32_e32 v13, v10, v16
	v_fma_f32 v16, v10, v17, -v8
	ds_read2st64_b64 v[8:11], v99 offset0:30 offset1:33
	v_mul_f32_e32 v17, v1, v15
	v_mul_f32_e32 v1, v1, v14
	v_fmac_f32_e32 v17, v0, v14
	v_fma_f32 v14, v0, v15, -v1
	v_mul_f32_e32 v15, v3, v19
	v_mul_f32_e32 v0, v3, v18
	v_fmac_f32_e32 v15, v2, v18
	v_fma_f32 v18, v2, v19, -v0
	s_waitcnt lgkmcnt(0)
	v_mul_f32_e32 v19, v80, v9
	v_mul_f32_e32 v0, v80, v8
	v_fmac_f32_e32 v19, v79, v8
	v_fma_f32 v8, v79, v9, -v0
	ds_read2st64_b64 v[0:3], v99 offset1:3
	v_mul_f32_e32 v79, v78, v11
	v_mul_f32_e32 v9, v78, v10
	v_fmac_f32_e32 v79, v77, v10
	v_fma_f32 v10, v77, v11, -v9
	s_waitcnt lgkmcnt(0)
	v_add_f32_e32 v9, v1, v109
	v_add_f32_e32 v11, v9, v16
	v_sub_f32_e32 v77, v109, v16
	v_add_f32_e32 v9, v109, v16
	v_add_f32_e32 v16, v0, v107
	v_add_f32_e32 v16, v16, v13
	v_add_f32_e32 v78, v107, v13
	v_sub_f32_e32 v13, v107, v13
	v_add_f32_e32 v107, v124, v19
	v_add_f32_e32 v80, v105, v124
	v_fmac_f32_e32 v105, -0.5, v107
	v_add_f32_e32 v107, v106, v12
	v_add_f32_e32 v107, v107, v8
	v_sub_f32_e32 v109, v12, v8
	v_add_f32_e32 v8, v12, v8
	v_fmac_f32_e32 v106, -0.5, v8
	v_add_f32_e32 v12, v80, v19
	v_sub_f32_e32 v19, v124, v19
	v_mov_b32_e32 v80, v106
	v_mov_b32_e32 v8, v105
	v_fmac_f32_e32 v80, 0x3f5db3d7, v19
	v_fma_f32 v78, -0.5, v78, v0
	v_fma_f32 v126, -0.5, v9, v1
	v_fmac_f32_e32 v8, 0xbf5db3d7, v109
	v_mul_f32_e32 v124, 0xbf5db3d7, v80
	v_mul_f32_e32 v80, 0.5, v80
	v_mov_b32_e32 v125, v78
	v_mov_b32_e32 v127, v126
	v_fmac_f32_e32 v124, 0.5, v8
	v_fmac_f32_e32 v80, 0x3f5db3d7, v8
	v_fmac_f32_e32 v125, 0xbf5db3d7, v77
	;; [unrolled: 1-line block ×3, first 2 shown]
	v_add_f32_e32 v0, v16, v12
	v_add_f32_e32 v1, v11, v107
	;; [unrolled: 1-line block ×4, first 2 shown]
	v_fmac_f32_e32 v106, 0xbf5db3d7, v19
	s_barrier
	ds_write2_b64 v108, v[0:1], v[8:9] offset1:6
	v_sub_f32_e32 v0, v16, v12
	v_sub_f32_e32 v1, v11, v107
	v_fmac_f32_e32 v105, 0x3f5db3d7, v109
	v_mul_f32_e32 v11, 0xbf5db3d7, v106
	v_mul_f32_e32 v12, -0.5, v106
	v_fmac_f32_e32 v78, 0x3f5db3d7, v77
	v_fmac_f32_e32 v126, 0xbf5db3d7, v13
	v_fmac_f32_e32 v11, -0.5, v105
	v_fmac_f32_e32 v12, 0x3f5db3d7, v105
	v_add_f32_e32 v8, v78, v11
	v_add_f32_e32 v9, v126, v12
	ds_write2_b64 v108, v[8:9], v[0:1] offset0:12 offset1:18
	v_sub_f32_e32 v0, v125, v124
	v_sub_f32_e32 v1, v127, v80
	;; [unrolled: 1-line block ×4, first 2 shown]
	ds_write2_b64 v108, v[0:1], v[8:9] offset0:24 offset1:30
	v_add_f32_e32 v8, v17, v79
	v_add_f32_e32 v0, v3, v123
	v_add_f32_e32 v1, v120, v17
	v_fmac_f32_e32 v120, -0.5, v8
	v_add_f32_e32 v8, v121, v14
	v_add_f32_e32 v11, v0, v18
	;; [unrolled: 1-line block ×5, first 2 shown]
	v_fmac_f32_e32 v3, -0.5, v0
	v_add_f32_e32 v0, v2, v122
	v_fmac_f32_e32 v121, -0.5, v8
	v_sub_f32_e32 v12, v123, v18
	v_add_f32_e32 v13, v0, v15
	v_add_f32_e32 v0, v122, v15
	v_sub_f32_e32 v18, v14, v10
	v_sub_f32_e32 v14, v17, v79
	v_mov_b32_e32 v8, v121
	v_add_f32_e32 v10, v1, v79
	v_mov_b32_e32 v1, v120
	v_fmac_f32_e32 v8, 0x3f5db3d7, v14
	v_fma_f32 v2, -0.5, v0, v2
	v_sub_f32_e32 v15, v122, v15
	v_fmac_f32_e32 v1, 0xbf5db3d7, v18
	v_mul_f32_e32 v17, 0xbf5db3d7, v8
	v_mul_f32_e32 v19, 0.5, v8
	v_mov_b32_e32 v77, v2
	v_mov_b32_e32 v78, v3
	v_fmac_f32_e32 v17, 0.5, v1
	v_fmac_f32_e32 v19, 0x3f5db3d7, v1
	v_fmac_f32_e32 v77, 0xbf5db3d7, v12
	;; [unrolled: 1-line block ×3, first 2 shown]
	v_add_f32_e32 v0, v13, v10
	v_add_f32_e32 v1, v11, v16
	;; [unrolled: 1-line block ×4, first 2 shown]
	v_fmac_f32_e32 v121, 0xbf5db3d7, v14
	ds_write2_b64 v110, v[0:1], v[8:9] offset1:6
	v_sub_f32_e32 v0, v13, v10
	v_sub_f32_e32 v1, v11, v16
	v_fmac_f32_e32 v120, 0x3f5db3d7, v18
	v_mul_f32_e32 v10, 0xbf5db3d7, v121
	v_mul_f32_e32 v11, -0.5, v121
	v_fmac_f32_e32 v2, 0x3f5db3d7, v12
	v_fmac_f32_e32 v3, 0xbf5db3d7, v15
	v_fmac_f32_e32 v10, -0.5, v120
	v_fmac_f32_e32 v11, 0x3f5db3d7, v120
	v_add_f32_e32 v8, v2, v10
	v_add_f32_e32 v9, v3, v11
	ds_write2_b64 v110, v[8:9], v[0:1] offset0:12 offset1:18
	v_sub_f32_e32 v1, v3, v11
	v_sub_f32_e32 v0, v2, v10
	;; [unrolled: 1-line block ×4, first 2 shown]
	ds_write2_b64 v110, v[2:3], v[0:1] offset0:24 offset1:30
	s_waitcnt lgkmcnt(0)
	s_barrier
	ds_read2st64_b64 v[0:3], v99 offset0:30 offset1:33
	ds_read2st64_b64 v[8:11], v99 offset0:24 offset1:27
	s_waitcnt lgkmcnt(1)
	v_mul_f32_e32 v12, v86, v1
	v_fmac_f32_e32 v12, v85, v0
	v_mul_f32_e32 v0, v86, v0
	v_fma_f32 v13, v85, v1, -v0
	v_mul_f32_e32 v0, v84, v2
	v_mul_f32_e32 v14, v84, v3
	v_fma_f32 v15, v83, v3, -v0
	s_waitcnt lgkmcnt(0)
	v_mul_f32_e32 v0, v82, v10
	v_fmac_f32_e32 v14, v83, v2
	v_fma_f32 v17, v81, v11, -v0
	ds_read2st64_b64 v[0:3], v99 offset0:12 offset1:15
	v_mul_f32_e32 v18, v31, v9
	v_mul_f32_e32 v16, v82, v11
	v_fmac_f32_e32 v18, v30, v8
	v_mul_f32_e32 v8, v31, v8
	v_fmac_f32_e32 v16, v81, v10
	v_fma_f32 v19, v30, v9, -v8
	ds_read2st64_b64 v[8:11], v99 offset0:18 offset1:21
	s_waitcnt lgkmcnt(1)
	v_mul_f32_e32 v30, v29, v3
	v_fmac_f32_e32 v30, v28, v2
	v_mul_f32_e32 v2, v29, v2
	v_mul_f32_e32 v29, v21, v1
	v_fmac_f32_e32 v29, v20, v0
	v_mul_f32_e32 v0, v21, v0
	v_fma_f32 v20, v20, v1, -v0
	s_waitcnt lgkmcnt(0)
	v_mul_f32_e32 v21, v23, v11
	v_mul_f32_e32 v0, v23, v10
	v_fma_f32 v28, v28, v3, -v2
	v_fmac_f32_e32 v21, v22, v10
	v_fma_f32 v22, v22, v11, -v0
	ds_read2st64_b64 v[0:3], v99 offset0:6 offset1:9
	v_mul_f32_e32 v10, v7, v9
	v_mul_f32_e32 v7, v7, v8
	v_fmac_f32_e32 v10, v6, v8
	v_fma_f32 v11, v6, v9, -v7
	ds_read2st64_b64 v[6:9], v99 offset1:3
	s_waitcnt lgkmcnt(1)
	v_mul_f32_e32 v23, v5, v3
	v_fmac_f32_e32 v23, v4, v2
	v_mul_f32_e32 v2, v5, v2
	v_fma_f32 v2, v4, v3, -v2
	s_waitcnt lgkmcnt(0)
	v_sub_f32_e32 v10, v6, v10
	v_sub_f32_e32 v11, v7, v11
	;; [unrolled: 1-line block ×4, first 2 shown]
	v_fma_f32 v3, v23, 2.0, -v16
	v_fma_f32 v4, v2, 2.0, -v17
	;; [unrolled: 1-line block ×4, first 2 shown]
	v_sub_f32_e32 v2, v5, v3
	v_sub_f32_e32 v3, v6, v4
	v_fma_f32 v4, v5, 2.0, -v2
	v_fma_f32 v5, v6, 2.0, -v3
	v_add_f32_e32 v6, v10, v17
	v_sub_f32_e32 v7, v11, v16
	v_fma_f32 v10, v10, 2.0, -v6
	v_fma_f32 v11, v11, 2.0, -v7
	s_barrier
	ds_write2_b64 v111, v[4:5], v[10:11] offset1:36
	ds_write2_b64 v111, v[2:3], v[6:7] offset0:72 offset1:108
	v_sub_f32_e32 v10, v8, v21
	v_sub_f32_e32 v11, v9, v22
	;; [unrolled: 1-line block ×4, first 2 shown]
	v_fma_f32 v4, v8, 2.0, -v10
	v_fma_f32 v5, v9, 2.0, -v11
	;; [unrolled: 1-line block ×4, first 2 shown]
	v_sub_f32_e32 v2, v4, v2
	v_sub_f32_e32 v3, v5, v3
	v_add_f32_e32 v6, v10, v6
	v_sub_f32_e32 v7, v11, v7
	v_fma_f32 v4, v4, 2.0, -v2
	v_fma_f32 v5, v5, 2.0, -v3
	;; [unrolled: 1-line block ×4, first 2 shown]
	ds_write2_b64 v112, v[4:5], v[8:9] offset1:36
	ds_write2_b64 v112, v[2:3], v[6:7] offset0:72 offset1:108
	v_sub_f32_e32 v6, v0, v18
	v_sub_f32_e32 v7, v1, v19
	;; [unrolled: 1-line block ×4, first 2 shown]
	v_fma_f32 v2, v0, 2.0, -v6
	v_fma_f32 v3, v1, 2.0, -v7
	;; [unrolled: 1-line block ×4, first 2 shown]
	v_sub_f32_e32 v0, v2, v0
	v_sub_f32_e32 v1, v3, v1
	v_add_f32_e32 v4, v6, v4
	v_sub_f32_e32 v5, v7, v5
	v_fma_f32 v2, v2, 2.0, -v0
	v_fma_f32 v3, v3, 2.0, -v1
	;; [unrolled: 1-line block ×4, first 2 shown]
	ds_write2_b64 v113, v[2:3], v[6:7] offset1:36
	ds_write2_b64 v113, v[0:1], v[4:5] offset0:72 offset1:108
	s_waitcnt lgkmcnt(0)
	s_barrier
	ds_read2st64_b64 v[0:3], v99 offset0:30 offset1:33
	ds_read2st64_b64 v[4:7], v99 offset0:24 offset1:27
	s_waitcnt lgkmcnt(1)
	v_mul_f32_e32 v12, v92, v1
	v_fmac_f32_e32 v12, v91, v0
	v_mul_f32_e32 v0, v92, v0
	v_fma_f32 v13, v91, v1, -v0
	v_mul_f32_e32 v0, v90, v2
	v_mul_f32_e32 v14, v90, v3
	v_fma_f32 v15, v89, v3, -v0
	s_waitcnt lgkmcnt(0)
	v_mul_f32_e32 v0, v88, v6
	v_fmac_f32_e32 v14, v89, v2
	v_fma_f32 v9, v87, v7, -v0
	ds_read2st64_b64 v[0:3], v99 offset0:12 offset1:15
	v_mul_f32_e32 v16, v39, v5
	v_fmac_f32_e32 v16, v38, v4
	v_mul_f32_e32 v4, v39, v4
	v_fma_f32 v17, v38, v5, -v4
	s_waitcnt lgkmcnt(0)
	v_mul_f32_e32 v18, v37, v3
	v_fmac_f32_e32 v18, v36, v2
	v_mul_f32_e32 v2, v37, v2
	v_fma_f32 v19, v36, v3, -v2
	ds_read2st64_b64 v[2:5], v99 offset0:18 offset1:21
	v_mul_f32_e32 v20, v33, v1
	v_fmac_f32_e32 v20, v32, v0
	v_mul_f32_e32 v0, v33, v0
	v_mul_f32_e32 v8, v88, v7
	v_fma_f32 v21, v32, v1, -v0
	s_waitcnt lgkmcnt(0)
	v_mul_f32_e32 v22, v35, v5
	v_mul_f32_e32 v0, v35, v4
	v_fmac_f32_e32 v8, v87, v6
	v_fmac_f32_e32 v22, v34, v4
	v_fma_f32 v23, v34, v5, -v0
	ds_read2st64_b64 v[4:7], v99 offset0:6 offset1:9
	v_mul_f32_e32 v10, v27, v3
	v_mul_f32_e32 v0, v27, v2
	v_fmac_f32_e32 v10, v26, v2
	v_fma_f32 v11, v26, v3, -v0
	ds_read2st64_b64 v[0:3], v99 offset1:3
	s_waitcnt lgkmcnt(1)
	v_mul_f32_e32 v26, v25, v7
	v_fmac_f32_e32 v26, v24, v6
	v_mul_f32_e32 v6, v25, v6
	v_fma_f32 v6, v24, v7, -v6
	s_waitcnt lgkmcnt(0)
	v_sub_f32_e32 v10, v0, v10
	v_sub_f32_e32 v24, v26, v8
	;; [unrolled: 1-line block ×4, first 2 shown]
	v_fma_f32 v7, v26, 2.0, -v24
	v_fma_f32 v9, v0, 2.0, -v10
	;; [unrolled: 1-line block ×4, first 2 shown]
	v_sub_f32_e32 v0, v9, v7
	v_sub_f32_e32 v1, v25, v6
	v_fma_f32 v6, v9, 2.0, -v0
	v_add_f32_e32 v8, v10, v8
	v_sub_f32_e32 v9, v11, v24
	v_fma_f32 v7, v25, 2.0, -v1
	v_fma_f32 v10, v10, 2.0, -v8
	;; [unrolled: 1-line block ×3, first 2 shown]
	s_barrier
	ds_write2_b64 v117, v[6:7], v[10:11] offset1:144
	v_sub_f32_e32 v22, v2, v22
	v_sub_f32_e32 v23, v3, v23
	;; [unrolled: 1-line block ×4, first 2 shown]
	v_fma_f32 v6, v2, 2.0, -v22
	v_fma_f32 v7, v3, 2.0, -v23
	;; [unrolled: 1-line block ×4, first 2 shown]
	v_add_f32_e32 v10, v22, v10
	v_sub_f32_e32 v11, v23, v11
	v_fma_f32 v12, v22, 2.0, -v10
	v_fma_f32 v13, v23, 2.0, -v11
	v_sub_f32_e32 v20, v4, v16
	v_sub_f32_e32 v21, v5, v17
	;; [unrolled: 1-line block ×4, first 2 shown]
	v_fma_f32 v16, v4, 2.0, -v20
	v_fma_f32 v17, v5, 2.0, -v21
	;; [unrolled: 1-line block ×4, first 2 shown]
	v_sub_f32_e32 v4, v16, v4
	v_sub_f32_e32 v5, v17, v5
	;; [unrolled: 1-line block ×4, first 2 shown]
	v_fma_f32 v14, v16, 2.0, -v4
	v_fma_f32 v15, v17, 2.0, -v5
	v_add_f32_e32 v16, v20, v23
	v_sub_f32_e32 v17, v21, v22
	v_fma_f32 v6, v6, 2.0, -v2
	v_fma_f32 v7, v7, 2.0, -v3
	;; [unrolled: 1-line block ×4, first 2 shown]
	ds_write2_b64 v114, v[0:1], v[8:9] offset0:32 offset1:176
	ds_write2_b64 v115, v[6:7], v[12:13] offset1:144
	ds_write2_b64 v116, v[2:3], v[10:11] offset0:32 offset1:176
	ds_write2_b64 v118, v[14:15], v[18:19] offset1:144
	ds_write2_b64 v119, v[4:5], v[16:17] offset0:32 offset1:176
	s_waitcnt lgkmcnt(0)
	s_barrier
	ds_read2st64_b64 v[0:3], v99 offset1:3
	ds_read2st64_b64 v[4:7], v99 offset0:6 offset1:9
	ds_read2st64_b64 v[8:11], v99 offset0:18 offset1:21
	;; [unrolled: 1-line block ×5, first 2 shown]
	s_waitcnt lgkmcnt(4)
	v_mul_f32_e32 v26, v41, v7
	v_fmac_f32_e32 v26, v40, v6
	v_mul_f32_e32 v6, v41, v6
	v_fma_f32 v6, v40, v7, -v6
	s_waitcnt lgkmcnt(3)
	v_mul_f32_e32 v7, v43, v9
	v_fmac_f32_e32 v7, v42, v8
	v_mul_f32_e32 v8, v43, v8
	v_fma_f32 v8, v42, v9, -v8
	;; [unrolled: 5-line block ×4, first 2 shown]
	v_mul_f32_e32 v17, v47, v11
	v_fmac_f32_e32 v17, v46, v10
	v_mul_f32_e32 v10, v47, v10
	v_fma_f32 v27, v46, v11, -v10
	s_waitcnt lgkmcnt(0)
	v_mul_f32_e32 v28, v98, v21
	v_mul_f32_e32 v10, v98, v20
	v_fmac_f32_e32 v28, v97, v20
	v_fma_f32 v20, v97, v21, -v10
	v_mul_f32_e32 v21, v49, v19
	v_mul_f32_e32 v10, v49, v18
	v_fmac_f32_e32 v21, v48, v18
	v_fma_f32 v18, v48, v19, -v10
	v_mul_f32_e32 v10, v51, v12
	v_mul_f32_e32 v19, v51, v13
	v_fma_f32 v29, v50, v13, -v10
	v_mul_f32_e32 v30, v94, v23
	v_mul_f32_e32 v10, v94, v22
	v_fmac_f32_e32 v19, v50, v12
	v_fmac_f32_e32 v30, v93, v22
	v_fma_f32 v22, v93, v23, -v10
	v_sub_f32_e32 v10, v0, v7
	v_sub_f32_e32 v11, v1, v8
	;; [unrolled: 1-line block ×4, first 2 shown]
	v_fma_f32 v7, v0, 2.0, -v10
	v_fma_f32 v8, v1, 2.0, -v11
	;; [unrolled: 1-line block ×4, first 2 shown]
	v_sub_f32_e32 v0, v7, v0
	v_sub_f32_e32 v1, v8, v1
	v_sub_f32_e32 v17, v2, v17
	v_sub_f32_e32 v23, v3, v27
	v_sub_f32_e32 v26, v15, v28
	v_sub_f32_e32 v14, v16, v20
	v_fma_f32 v6, v7, 2.0, -v0
	v_fma_f32 v7, v8, 2.0, -v1
	v_add_f32_e32 v8, v10, v12
	v_fma_f32 v12, v2, 2.0, -v17
	v_fma_f32 v13, v3, 2.0, -v23
	;; [unrolled: 1-line block ×4, first 2 shown]
	v_add_f32_e32 v14, v17, v14
	v_sub_f32_e32 v15, v23, v26
	v_fma_f32 v16, v17, 2.0, -v14
	v_fma_f32 v17, v23, 2.0, -v15
	v_sub_f32_e32 v23, v4, v19
	v_sub_f32_e32 v26, v5, v29
	;; [unrolled: 1-line block ×4, first 2 shown]
	v_fma_f32 v19, v4, 2.0, -v23
	v_fma_f32 v20, v5, 2.0, -v26
	;; [unrolled: 1-line block ×4, first 2 shown]
	v_sub_f32_e32 v9, v11, v9
	v_sub_f32_e32 v4, v19, v4
	;; [unrolled: 1-line block ×3, first 2 shown]
	v_mad_u64_u32 v[24:25], s[6:7], s2, v62, 0
	v_fma_f32 v10, v10, 2.0, -v8
	v_fma_f32 v11, v11, 2.0, -v9
	v_sub_f32_e32 v2, v12, v2
	v_sub_f32_e32 v3, v13, v3
	v_fma_f32 v18, v19, 2.0, -v4
	v_fma_f32 v19, v20, 2.0, -v5
	v_add_f32_e32 v20, v23, v22
	v_sub_f32_e32 v21, v26, v27
	v_fma_f32 v12, v12, 2.0, -v2
	v_fma_f32 v13, v13, 2.0, -v3
	;; [unrolled: 1-line block ×4, first 2 shown]
	ds_write_b64 v99, v[10:11] offset:4608
	ds_write_b64 v99, v[0:1] offset:9216
	;; [unrolled: 1-line block ×3, first 2 shown]
	ds_write2st64_b64 v99, v[6:7], v[12:13] offset1:3
	ds_write_b64 v99, v[14:15] offset:15360
	ds_write_b64 v99, v[18:19] offset:3072
	ds_write2st64_b64 v99, v[16:17], v[22:23] offset0:12 offset1:15
	ds_write2st64_b64 v99, v[2:3], v[4:5] offset0:21 offset1:24
	ds_write_b64 v99, v[20:21] offset:16896
	s_waitcnt lgkmcnt(0)
	s_barrier
	ds_read2st64_b64 v[0:3], v99 offset1:3
	v_mov_b32_e32 v4, v25
	v_mad_u64_u32 v[4:5], s[2:3], s3, v62, v[4:5]
	s_mov_b32 s2, 0x1c71c71c
	s_waitcnt lgkmcnt(0)
	v_mul_f32_e32 v5, v74, v1
	v_fmac_f32_e32 v5, v73, v0
	v_cvt_f64_f32_e32 v[5:6], v5
	s_mov_b32 s3, 0x3f3c71c7
	v_mad_u64_u32 v[8:9], s[6:7], s0, v104, 0
	v_mul_f64 v[5:6], v[5:6], s[2:3]
	v_mul_f32_e32 v0, v74, v0
	v_fma_f32 v0, v73, v1, -v0
	v_cvt_f64_f32_e32 v[0:1], v0
	v_mov_b32_e32 v25, v4
	v_mov_b32_e32 v4, v9
	;; [unrolled: 1-line block ×3, first 2 shown]
	v_mul_f64 v[0:1], v[0:1], s[2:3]
	v_mad_u64_u32 v[9:10], s[6:7], s1, v104, v[4:5]
	v_cvt_f32_f64_e32 v10, v[5:6]
	ds_read2st64_b64 v[4:7], v99 offset0:6 offset1:9
	v_lshlrev_b64 v[8:9], 3, v[8:9]
	s_mul_hi_u32 s5, s0, 0xc00
	v_cvt_f32_f64_e32 v11, v[0:1]
	s_waitcnt lgkmcnt(0)
	v_mul_f32_e32 v12, v72, v5
	v_fmac_f32_e32 v12, v71, v4
	v_mul_f32_e32 v4, v72, v4
	v_fma_f32 v4, v71, v5, -v4
	v_cvt_f64_f32_e32 v[12:13], v12
	v_cvt_f64_f32_e32 v[4:5], v4
	v_lshlrev_b64 v[0:1], 3, v[24:25]
	v_add_co_u32_e32 v26, vcc, s4, v0
	v_addc_co_u32_e32 v27, vcc, v14, v1, vcc
	v_mul_f64 v[0:1], v[12:13], s[2:3]
	v_mul_f64 v[4:5], v[4:5], s[2:3]
	v_add_co_u32_e32 v12, vcc, v26, v8
	v_addc_co_u32_e32 v13, vcc, v27, v9, vcc
	global_store_dwordx2 v[12:13], v[10:11], off
	ds_read2st64_b64 v[8:11], v99 offset0:12 offset1:15
	v_cvt_f32_f64_e32 v0, v[0:1]
	v_cvt_f32_f64_e32 v1, v[4:5]
	s_mul_i32 s4, s1, 0xc00
	s_add_i32 s4, s5, s4
	s_waitcnt lgkmcnt(0)
	v_mul_f32_e32 v4, v76, v9
	s_mul_i32 s5, s0, 0xc00
	v_fmac_f32_e32 v4, v75, v8
	v_mul_f32_e32 v8, v76, v8
	v_mov_b32_e32 v14, s4
	v_add_co_u32_e32 v20, vcc, s5, v12
	v_fma_f32 v8, v75, v9, -v8
	v_cvt_f64_f32_e32 v[4:5], v4
	v_addc_co_u32_e32 v21, vcc, v13, v14, vcc
	v_cvt_f64_f32_e32 v[8:9], v8
	ds_read2st64_b64 v[12:15], v99 offset0:18 offset1:21
	global_store_dwordx2 v[20:21], v[0:1], off
	v_mad_u64_u32 v[0:1], s[6:7], s0, v103, 0
	v_mul_f64 v[4:5], v[4:5], s[2:3]
	v_mul_f64 v[8:9], v[8:9], s[2:3]
	v_mad_u64_u32 v[16:17], s[6:7], s1, v103, v[1:2]
	s_waitcnt lgkmcnt(0)
	v_mul_f32_e32 v1, v70, v13
	v_fmac_f32_e32 v1, v69, v12
	v_mul_f32_e32 v12, v70, v12
	v_fma_f32 v12, v69, v13, -v12
	v_cvt_f64_f32_e32 v[17:18], v1
	v_cvt_f64_f32_e32 v[12:13], v12
	v_cvt_f32_f64_e32 v4, v[4:5]
	v_cvt_f32_f64_e32 v5, v[8:9]
	v_mul_f64 v[8:9], v[17:18], s[2:3]
	v_mul_f64 v[12:13], v[12:13], s[2:3]
	v_mov_b32_e32 v1, v16
	ds_read2st64_b64 v[16:19], v99 offset0:24 offset1:27
	v_lshlrev_b64 v[0:1], 3, v[0:1]
	v_add_co_u32_e32 v0, vcc, v26, v0
	v_addc_co_u32_e32 v1, vcc, v27, v1, vcc
	global_store_dwordx2 v[0:1], v[4:5], off
	s_waitcnt lgkmcnt(0)
	v_mul_f32_e32 v1, v68, v17
	v_mad_u64_u32 v[4:5], s[6:7], s0, v100, v[20:21]
	v_fmac_f32_e32 v1, v67, v16
	v_cvt_f32_f64_e32 v0, v[8:9]
	v_cvt_f64_f32_e32 v[8:9], v1
	v_cvt_f32_f64_e32 v1, v[12:13]
	v_mul_f32_e32 v12, v68, v16
	v_fma_f32 v12, v67, v17, -v12
	v_cvt_f64_f32_e32 v[12:13], v12
	v_add_u32_e32 v5, s8, v5
	ds_read2st64_b64 v[20:23], v99 offset0:30 offset1:33
	global_store_dwordx2 v[4:5], v[0:1], off
	v_mad_u64_u32 v[0:1], s[6:7], s0, v102, 0
	v_mul_f64 v[8:9], v[8:9], s[2:3]
	v_mul_f64 v[12:13], v[12:13], s[2:3]
	v_mad_u64_u32 v[16:17], s[6:7], s1, v102, v[1:2]
	s_waitcnt lgkmcnt(0)
	v_mul_f32_e32 v1, v64, v21
	v_fmac_f32_e32 v1, v63, v20
	v_cvt_f64_f32_e32 v[24:25], v1
	v_mov_b32_e32 v1, v16
	v_mul_f32_e32 v16, v64, v20
	v_fma_f32 v16, v63, v21, -v16
	v_cvt_f32_f64_e32 v8, v[8:9]
	v_cvt_f32_f64_e32 v9, v[12:13]
	v_lshlrev_b64 v[0:1], 3, v[0:1]
	v_mul_f64 v[12:13], v[24:25], s[2:3]
	v_cvt_f64_f32_e32 v[16:17], v16
	v_add_co_u32_e32 v0, vcc, v26, v0
	v_addc_co_u32_e32 v1, vcc, v27, v1, vcc
	global_store_dwordx2 v[0:1], v[8:9], off
	v_mul_f64 v[8:9], v[16:17], s[2:3]
	v_mul_f32_e32 v1, v61, v3
	v_fmac_f32_e32 v1, v60, v2
	v_cvt_f32_f64_e32 v0, v[12:13]
	v_cvt_f64_f32_e32 v[12:13], v1
	v_mul_f32_e32 v1, v61, v2
	v_fma_f32 v1, v60, v3, -v1
	v_cvt_f64_f32_e32 v[2:3], v1
	v_cvt_f32_f64_e32 v1, v[8:9]
	v_mul_f64 v[8:9], v[12:13], s[2:3]
	v_mul_f32_e32 v12, v66, v7
	v_fmac_f32_e32 v12, v65, v6
	v_mul_f32_e32 v6, v66, v6
	v_fma_f32 v6, v65, v7, -v6
	v_mul_f64 v[2:3], v[2:3], s[2:3]
	v_cvt_f64_f32_e32 v[6:7], v6
	v_mad_u64_u32 v[4:5], s[6:7], s0, v100, v[4:5]
	v_cvt_f64_f32_e32 v[12:13], v12
	v_mul_f64 v[6:7], v[6:7], s[2:3]
	v_add_u32_e32 v5, s8, v5
	global_store_dwordx2 v[4:5], v[0:1], off
	v_cvt_f32_f64_e32 v0, v[8:9]
	v_mul_f64 v[8:9], v[12:13], s[2:3]
	v_mad_u64_u32 v[4:5], s[6:7], s0, v101, v[4:5]
	v_cvt_f32_f64_e32 v1, v[2:3]
	s_mulk_i32 s1, 0xca00
	s_sub_i32 s0, s1, s0
	v_add_u32_e32 v5, s0, v5
	global_store_dwordx2 v[4:5], v[0:1], off
	v_cvt_f32_f64_e32 v1, v[6:7]
	v_mul_f32_e32 v2, v59, v11
	v_mul_f32_e32 v6, v59, v10
	v_fmac_f32_e32 v2, v58, v10
	v_fma_f32 v6, v58, v11, -v6
	v_cvt_f32_f64_e32 v0, v[8:9]
	v_cvt_f64_f32_e32 v[2:3], v2
	v_cvt_f64_f32_e32 v[6:7], v6
	v_mov_b32_e32 v8, s4
	v_add_co_u32_e32 v4, vcc, s5, v4
	v_addc_co_u32_e32 v5, vcc, v5, v8, vcc
	global_store_dwordx2 v[4:5], v[0:1], off
	v_mul_f64 v[0:1], v[2:3], s[2:3]
	v_mul_f64 v[2:3], v[6:7], s[2:3]
	v_mul_f32_e32 v6, v57, v15
	v_mul_f32_e32 v8, v57, v14
	v_fmac_f32_e32 v6, v56, v14
	v_fma_f32 v8, v56, v15, -v8
	v_cvt_f64_f32_e32 v[6:7], v6
	v_cvt_f64_f32_e32 v[8:9], v8
	v_cvt_f32_f64_e32 v0, v[0:1]
	v_cvt_f32_f64_e32 v1, v[2:3]
	v_mul_f64 v[2:3], v[6:7], s[2:3]
	v_mul_f64 v[6:7], v[8:9], s[2:3]
	v_mov_b32_e32 v8, s4
	v_add_co_u32_e32 v4, vcc, s5, v4
	v_addc_co_u32_e32 v5, vcc, v5, v8, vcc
	global_store_dwordx2 v[4:5], v[0:1], off
	v_cvt_f32_f64_e32 v0, v[2:3]
	v_cvt_f32_f64_e32 v1, v[6:7]
	v_mul_f32_e32 v2, v55, v19
	v_mul_f32_e32 v6, v55, v18
	v_fmac_f32_e32 v2, v54, v18
	v_fma_f32 v6, v54, v19, -v6
	v_cvt_f64_f32_e32 v[2:3], v2
	v_cvt_f64_f32_e32 v[6:7], v6
	v_add_co_u32_e32 v4, vcc, s5, v4
	v_addc_co_u32_e32 v5, vcc, v5, v8, vcc
	global_store_dwordx2 v[4:5], v[0:1], off
	v_mul_f64 v[0:1], v[2:3], s[2:3]
	v_mul_f64 v[2:3], v[6:7], s[2:3]
	v_mul_f32_e32 v6, v53, v23
	v_mul_f32_e32 v8, v53, v22
	v_fmac_f32_e32 v6, v52, v22
	v_fma_f32 v8, v52, v23, -v8
	v_cvt_f64_f32_e32 v[6:7], v6
	v_cvt_f64_f32_e32 v[8:9], v8
	v_cvt_f32_f64_e32 v0, v[0:1]
	v_cvt_f32_f64_e32 v1, v[2:3]
	v_mul_f64 v[2:3], v[6:7], s[2:3]
	v_mul_f64 v[6:7], v[8:9], s[2:3]
	v_mov_b32_e32 v8, s4
	v_add_co_u32_e32 v4, vcc, s5, v4
	v_addc_co_u32_e32 v5, vcc, v5, v8, vcc
	global_store_dwordx2 v[4:5], v[0:1], off
	v_cvt_f32_f64_e32 v0, v[2:3]
	v_cvt_f32_f64_e32 v1, v[6:7]
	v_mov_b32_e32 v3, s4
	v_add_co_u32_e32 v2, vcc, s5, v4
	v_addc_co_u32_e32 v3, vcc, v5, v3, vcc
	global_store_dwordx2 v[2:3], v[0:1], off
.LBB0_2:
	s_endpgm
	.section	.rodata,"a",@progbits
	.p2align	6, 0x0
	.amdhsa_kernel bluestein_single_fwd_len2304_dim1_sp_op_CI_CI
		.amdhsa_group_segment_fixed_size 18432
		.amdhsa_private_segment_fixed_size 0
		.amdhsa_kernarg_size 104
		.amdhsa_user_sgpr_count 6
		.amdhsa_user_sgpr_private_segment_buffer 1
		.amdhsa_user_sgpr_dispatch_ptr 0
		.amdhsa_user_sgpr_queue_ptr 0
		.amdhsa_user_sgpr_kernarg_segment_ptr 1
		.amdhsa_user_sgpr_dispatch_id 0
		.amdhsa_user_sgpr_flat_scratch_init 0
		.amdhsa_user_sgpr_private_segment_size 0
		.amdhsa_uses_dynamic_stack 0
		.amdhsa_system_sgpr_private_segment_wavefront_offset 0
		.amdhsa_system_sgpr_workgroup_id_x 1
		.amdhsa_system_sgpr_workgroup_id_y 0
		.amdhsa_system_sgpr_workgroup_id_z 0
		.amdhsa_system_sgpr_workgroup_info 0
		.amdhsa_system_vgpr_workitem_id 0
		.amdhsa_next_free_vgpr 156
		.amdhsa_next_free_sgpr 20
		.amdhsa_reserve_vcc 1
		.amdhsa_reserve_flat_scratch 0
		.amdhsa_float_round_mode_32 0
		.amdhsa_float_round_mode_16_64 0
		.amdhsa_float_denorm_mode_32 3
		.amdhsa_float_denorm_mode_16_64 3
		.amdhsa_dx10_clamp 1
		.amdhsa_ieee_mode 1
		.amdhsa_fp16_overflow 0
		.amdhsa_exception_fp_ieee_invalid_op 0
		.amdhsa_exception_fp_denorm_src 0
		.amdhsa_exception_fp_ieee_div_zero 0
		.amdhsa_exception_fp_ieee_overflow 0
		.amdhsa_exception_fp_ieee_underflow 0
		.amdhsa_exception_fp_ieee_inexact 0
		.amdhsa_exception_int_div_zero 0
	.end_amdhsa_kernel
	.text
.Lfunc_end0:
	.size	bluestein_single_fwd_len2304_dim1_sp_op_CI_CI, .Lfunc_end0-bluestein_single_fwd_len2304_dim1_sp_op_CI_CI
                                        ; -- End function
	.section	.AMDGPU.csdata,"",@progbits
; Kernel info:
; codeLenInByte = 10160
; NumSgprs: 24
; NumVgprs: 156
; ScratchSize: 0
; MemoryBound: 0
; FloatMode: 240
; IeeeMode: 1
; LDSByteSize: 18432 bytes/workgroup (compile time only)
; SGPRBlocks: 2
; VGPRBlocks: 38
; NumSGPRsForWavesPerEU: 24
; NumVGPRsForWavesPerEU: 156
; Occupancy: 1
; WaveLimiterHint : 1
; COMPUTE_PGM_RSRC2:SCRATCH_EN: 0
; COMPUTE_PGM_RSRC2:USER_SGPR: 6
; COMPUTE_PGM_RSRC2:TRAP_HANDLER: 0
; COMPUTE_PGM_RSRC2:TGID_X_EN: 1
; COMPUTE_PGM_RSRC2:TGID_Y_EN: 0
; COMPUTE_PGM_RSRC2:TGID_Z_EN: 0
; COMPUTE_PGM_RSRC2:TIDIG_COMP_CNT: 0
	.type	__hip_cuid_e6c0399e2c64c26c,@object ; @__hip_cuid_e6c0399e2c64c26c
	.section	.bss,"aw",@nobits
	.globl	__hip_cuid_e6c0399e2c64c26c
__hip_cuid_e6c0399e2c64c26c:
	.byte	0                               ; 0x0
	.size	__hip_cuid_e6c0399e2c64c26c, 1

	.ident	"AMD clang version 19.0.0git (https://github.com/RadeonOpenCompute/llvm-project roc-6.4.0 25133 c7fe45cf4b819c5991fe208aaa96edf142730f1d)"
	.section	".note.GNU-stack","",@progbits
	.addrsig
	.addrsig_sym __hip_cuid_e6c0399e2c64c26c
	.amdgpu_metadata
---
amdhsa.kernels:
  - .args:
      - .actual_access:  read_only
        .address_space:  global
        .offset:         0
        .size:           8
        .value_kind:     global_buffer
      - .actual_access:  read_only
        .address_space:  global
        .offset:         8
        .size:           8
        .value_kind:     global_buffer
      - .actual_access:  read_only
        .address_space:  global
        .offset:         16
        .size:           8
        .value_kind:     global_buffer
      - .actual_access:  read_only
        .address_space:  global
        .offset:         24
        .size:           8
        .value_kind:     global_buffer
      - .actual_access:  read_only
        .address_space:  global
        .offset:         32
        .size:           8
        .value_kind:     global_buffer
      - .offset:         40
        .size:           8
        .value_kind:     by_value
      - .address_space:  global
        .offset:         48
        .size:           8
        .value_kind:     global_buffer
      - .address_space:  global
        .offset:         56
        .size:           8
        .value_kind:     global_buffer
      - .address_space:  global
        .offset:         64
        .size:           8
        .value_kind:     global_buffer
      - .address_space:  global
        .offset:         72
        .size:           8
        .value_kind:     global_buffer
      - .offset:         80
        .size:           4
        .value_kind:     by_value
      - .address_space:  global
        .offset:         88
        .size:           8
        .value_kind:     global_buffer
      - .address_space:  global
        .offset:         96
        .size:           8
        .value_kind:     global_buffer
    .group_segment_fixed_size: 18432
    .kernarg_segment_align: 8
    .kernarg_segment_size: 104
    .language:       OpenCL C
    .language_version:
      - 2
      - 0
    .max_flat_workgroup_size: 192
    .name:           bluestein_single_fwd_len2304_dim1_sp_op_CI_CI
    .private_segment_fixed_size: 0
    .sgpr_count:     24
    .sgpr_spill_count: 0
    .symbol:         bluestein_single_fwd_len2304_dim1_sp_op_CI_CI.kd
    .uniform_work_group_size: 1
    .uses_dynamic_stack: false
    .vgpr_count:     156
    .vgpr_spill_count: 0
    .wavefront_size: 64
amdhsa.target:   amdgcn-amd-amdhsa--gfx906
amdhsa.version:
  - 1
  - 2
...

	.end_amdgpu_metadata
